;; amdgpu-corpus repo=ROCm/rocFFT kind=compiled arch=gfx906 opt=O3
	.text
	.amdgcn_target "amdgcn-amd-amdhsa--gfx906"
	.amdhsa_code_object_version 6
	.protected	bluestein_single_back_len546_dim1_sp_op_CI_CI ; -- Begin function bluestein_single_back_len546_dim1_sp_op_CI_CI
	.globl	bluestein_single_back_len546_dim1_sp_op_CI_CI
	.p2align	8
	.type	bluestein_single_back_len546_dim1_sp_op_CI_CI,@function
bluestein_single_back_len546_dim1_sp_op_CI_CI: ; @bluestein_single_back_len546_dim1_sp_op_CI_CI
; %bb.0:
	v_mul_u32_u24_e32 v1, 0x691, v0
	s_load_dwordx4 s[8:11], s[4:5], 0x28
	v_lshrrev_b32_e32 v1, 16, v1
	v_mad_u64_u32 v[94:95], s[0:1], s6, 3, v[1:2]
	v_mov_b32_e32 v95, 0
	s_waitcnt lgkmcnt(0)
	v_cmp_gt_u64_e32 vcc, s[8:9], v[94:95]
	s_and_saveexec_b64 s[0:1], vcc
	s_cbranch_execz .LBB0_23
; %bb.1:
	s_load_dwordx4 s[0:3], s[4:5], 0x18
	s_load_dwordx2 s[16:17], s[4:5], 0x0
	v_mul_lo_u16_e32 v1, 39, v1
	v_sub_u16_e32 v130, v0, v1
	v_lshlrev_b32_e32 v29, 3, v130
	s_waitcnt lgkmcnt(0)
	s_load_dwordx4 s[12:15], s[0:1], 0x0
	global_load_dwordx2 v[105:106], v29, s[16:17]
	v_add_co_u32_e64 v80, s[6:7], s16, v29
	s_waitcnt lgkmcnt(0)
	v_mad_u64_u32 v[0:1], s[0:1], s14, v94, 0
	v_mad_u64_u32 v[2:3], s[0:1], s12, v130, 0
	;; [unrolled: 1-line block ×4, first 2 shown]
	v_mov_b32_e32 v1, v4
	v_lshlrev_b64 v[0:1], 3, v[0:1]
	v_mov_b32_e32 v6, s11
	v_mov_b32_e32 v3, v5
	v_add_co_u32_e32 v4, vcc, s10, v0
	v_addc_co_u32_e32 v5, vcc, v6, v1, vcc
	v_lshlrev_b64 v[0:1], 3, v[2:3]
	s_mul_i32 s0, s13, 42
	s_mul_hi_u32 s1, s12, 42
	v_add_co_u32_e32 v0, vcc, v4, v0
	s_add_i32 s1, s1, s0
	s_mul_i32 s0, s12, 42
	v_addc_co_u32_e32 v1, vcc, v5, v1, vcc
	s_lshl_b64 s[18:19], s[0:1], 3
	v_mov_b32_e32 v26, s19
	v_add_co_u32_e32 v2, vcc, s18, v0
	v_addc_co_u32_e32 v3, vcc, v1, v26, vcc
	v_add_co_u32_e32 v4, vcc, s18, v2
	v_addc_co_u32_e32 v5, vcc, v3, v26, vcc
	;; [unrolled: 2-line block ×3, first 2 shown]
	global_load_dwordx2 v[8:9], v[0:1], off
	global_load_dwordx2 v[10:11], v[2:3], off
	;; [unrolled: 1-line block ×4, first 2 shown]
	global_load_dwordx2 v[107:108], v29, s[16:17] offset:336
	global_load_dwordx2 v[103:104], v29, s[16:17] offset:672
	;; [unrolled: 1-line block ×3, first 2 shown]
	v_add_co_u32_e32 v0, vcc, s18, v6
	v_addc_co_u32_e32 v1, vcc, v7, v26, vcc
	global_load_dwordx2 v[2:3], v[0:1], off
	v_add_co_u32_e32 v0, vcc, s18, v0
	v_addc_co_u32_e32 v1, vcc, v1, v26, vcc
	global_load_dwordx2 v[4:5], v[0:1], off
	global_load_dwordx2 v[101:102], v29, s[16:17] offset:1344
	global_load_dwordx2 v[95:96], v29, s[16:17] offset:1680
	v_add_co_u32_e32 v0, vcc, s18, v0
	v_addc_co_u32_e32 v1, vcc, v1, v26, vcc
	global_load_dwordx2 v[6:7], v[0:1], off
	v_add_co_u32_e32 v0, vcc, s18, v0
	v_addc_co_u32_e32 v1, vcc, v1, v26, vcc
	global_load_dwordx2 v[16:17], v[0:1], off
	global_load_dwordx2 v[97:98], v29, s[16:17] offset:2016
	global_load_dwordx2 v[90:91], v29, s[16:17] offset:2352
	;; [unrolled: 8-line block ×3, first 2 shown]
	v_add_co_u32_e32 v0, vcc, s18, v0
	v_addc_co_u32_e32 v1, vcc, v1, v26, vcc
	global_load_dwordx2 v[22:23], v[0:1], off
	global_load_dwordx2 v[86:87], v29, s[16:17] offset:3360
	v_add_co_u32_e32 v0, vcc, s18, v0
	v_addc_co_u32_e32 v1, vcc, v1, v26, vcc
	global_load_dwordx2 v[24:25], v[0:1], off
	global_load_dwordx2 v[84:85], v29, s[16:17] offset:3696
	;; [unrolled: 4-line block ×3, first 2 shown]
	s_mov_b32 s0, 0xaaaaaaab
	v_mul_hi_u32 v28, v94, s0
	s_load_dwordx2 s[14:15], s[4:5], 0x38
	s_load_dwordx4 s[8:11], s[2:3], 0x0
	v_cmp_gt_u16_e64 s[0:1], 3, v130
	v_lshrrev_b32_e32 v28, 1, v28
	v_lshl_add_u32 v28, v28, 1, v28
	v_sub_u32_e32 v28, v94, v28
	v_mul_u32_u24_e32 v30, 0x222, v28
	v_mov_b32_e32 v28, s17
	v_addc_co_u32_e64 v81, vcc, 0, v28, s[6:7]
	v_lshlrev_b32_e32 v131, 3, v30
	v_add_u32_e32 v129, v29, v131
	s_waitcnt vmcnt(24)
	v_mul_f32_e32 v28, v9, v106
	v_fmac_f32_e32 v28, v8, v105
	v_mul_f32_e32 v8, v8, v106
	v_fma_f32 v29, v9, v105, -v8
	s_waitcnt vmcnt(20)
	v_mul_f32_e32 v8, v11, v108
	v_mul_f32_e32 v9, v10, v108
	v_fmac_f32_e32 v8, v10, v107
	v_fma_f32 v9, v11, v107, -v9
	ds_write2_b64 v129, v[28:29], v[8:9] offset1:42
	s_waitcnt vmcnt(19)
	v_mul_f32_e32 v8, v13, v104
	v_mul_f32_e32 v9, v12, v104
	s_waitcnt vmcnt(18)
	v_mul_f32_e32 v10, v15, v100
	v_mul_f32_e32 v11, v14, v100
	v_fmac_f32_e32 v8, v12, v103
	v_fma_f32 v9, v13, v103, -v9
	v_fmac_f32_e32 v10, v14, v99
	v_fma_f32 v11, v15, v99, -v11
	ds_write2_b64 v129, v[8:9], v[10:11] offset0:84 offset1:126
	s_waitcnt vmcnt(15)
	v_mul_f32_e32 v8, v3, v102
	v_fmac_f32_e32 v8, v2, v101
	v_mul_f32_e32 v2, v2, v102
	v_fma_f32 v9, v3, v101, -v2
	s_waitcnt vmcnt(14)
	v_mul_f32_e32 v2, v5, v96
	v_mul_f32_e32 v3, v4, v96
	v_fmac_f32_e32 v2, v4, v95
	v_fma_f32 v3, v5, v95, -v3
	ds_write2_b64 v129, v[8:9], v[2:3] offset0:168 offset1:210
	s_waitcnt vmcnt(11)
	v_mul_f32_e32 v2, v6, v98
	v_mul_f32_e32 v3, v7, v98
	v_fma_f32 v4, v7, v97, -v2
	s_waitcnt vmcnt(10)
	v_mul_f32_e32 v5, v17, v91
	v_mul_f32_e32 v2, v16, v91
	v_fmac_f32_e32 v3, v6, v97
	v_fmac_f32_e32 v5, v16, v90
	v_fma_f32 v6, v17, v90, -v2
	v_add_u32_e32 v2, 0x400, v129
	ds_write2_b64 v2, v[3:4], v[5:6] offset0:124 offset1:166
	s_waitcnt vmcnt(7)
	v_mul_f32_e32 v3, v18, v93
	v_mul_f32_e32 v4, v19, v93
	v_fma_f32 v5, v19, v92, -v3
	s_waitcnt vmcnt(6)
	v_mul_f32_e32 v6, v21, v89
	v_mul_f32_e32 v3, v20, v89
	v_fmac_f32_e32 v4, v18, v92
	v_fmac_f32_e32 v6, v20, v88
	v_fma_f32 v7, v21, v88, -v3
	v_add_u32_e32 v3, 0x800, v129
	ds_write2_b64 v3, v[4:5], v[6:7] offset0:80 offset1:122
	s_waitcnt vmcnt(4)
	v_mul_f32_e32 v4, v23, v87
	v_mul_f32_e32 v5, v22, v87
	s_waitcnt vmcnt(2)
	v_mul_f32_e32 v6, v25, v85
	v_mul_f32_e32 v7, v24, v85
	v_fmac_f32_e32 v4, v22, v86
	v_fma_f32 v5, v23, v86, -v5
	v_fmac_f32_e32 v6, v24, v84
	v_fma_f32 v7, v25, v84, -v7
	ds_write2_b64 v3, v[4:5], v[6:7] offset0:164 offset1:206
	s_waitcnt vmcnt(0)
	v_mul_f32_e32 v4, v27, v83
	v_mul_f32_e32 v5, v26, v83
	v_fmac_f32_e32 v4, v26, v82
	v_fma_f32 v5, v27, v82, -v5
	ds_write_b64 v129, v[4:5] offset:4032
	s_and_saveexec_b64 s[2:3], s[0:1]
	s_cbranch_execz .LBB0_3
; %bb.2:
	v_mov_b32_e32 v4, 0xfffff178
	v_mad_u64_u32 v[0:1], s[20:21], s12, v4, v[0:1]
	s_mulk_i32 s13, 0xf178
	s_sub_i32 s12, s13, s12
	v_add_u32_e32 v1, s12, v1
	global_load_dwordx2 v[4:5], v[0:1], off
	global_load_dwordx2 v[6:7], v[80:81], off offset:312
	v_add_co_u32_e32 v0, vcc, s18, v0
	v_mov_b32_e32 v12, s19
	v_addc_co_u32_e32 v1, vcc, v1, v12, vcc
	s_waitcnt vmcnt(0)
	v_mul_f32_e32 v8, v5, v7
	v_fmac_f32_e32 v8, v4, v6
	v_mul_f32_e32 v4, v4, v7
	v_fma_f32 v9, v5, v6, -v4
	global_load_dwordx2 v[4:5], v[0:1], off
	global_load_dwordx2 v[6:7], v[80:81], off offset:648
	v_add_co_u32_e32 v0, vcc, s18, v0
	v_addc_co_u32_e32 v1, vcc, v1, v12, vcc
	s_waitcnt vmcnt(0)
	v_mul_f32_e32 v10, v5, v7
	v_fmac_f32_e32 v10, v4, v6
	v_mul_f32_e32 v4, v4, v7
	v_fma_f32 v11, v5, v6, -v4
	ds_write2_b64 v129, v[8:9], v[10:11] offset0:39 offset1:81
	global_load_dwordx2 v[4:5], v[0:1], off
	global_load_dwordx2 v[6:7], v[80:81], off offset:984
	v_add_co_u32_e32 v0, vcc, s18, v0
	v_addc_co_u32_e32 v1, vcc, v1, v12, vcc
	s_waitcnt vmcnt(0)
	v_mul_f32_e32 v8, v5, v7
	v_fmac_f32_e32 v8, v4, v6
	v_mul_f32_e32 v4, v4, v7
	v_fma_f32 v9, v5, v6, -v4
	global_load_dwordx2 v[4:5], v[0:1], off
	global_load_dwordx2 v[6:7], v[80:81], off offset:1320
	v_add_co_u32_e32 v0, vcc, s18, v0
	v_addc_co_u32_e32 v1, vcc, v1, v12, vcc
	s_waitcnt vmcnt(0)
	v_mul_f32_e32 v10, v5, v7
	v_fmac_f32_e32 v10, v4, v6
	v_mul_f32_e32 v4, v4, v7
	v_fma_f32 v11, v5, v6, -v4
	ds_write2_b64 v129, v[8:9], v[10:11] offset0:123 offset1:165
	global_load_dwordx2 v[4:5], v[0:1], off
	global_load_dwordx2 v[6:7], v[80:81], off offset:1656
	v_add_co_u32_e32 v0, vcc, s18, v0
	;; [unrolled: 19-line block ×5, first 2 shown]
	v_addc_co_u32_e32 v1, vcc, v1, v12, vcc
	s_waitcnt vmcnt(0)
	v_mul_f32_e32 v8, v5, v7
	v_fmac_f32_e32 v8, v4, v6
	v_mul_f32_e32 v4, v4, v7
	v_fma_f32 v9, v5, v6, -v4
	global_load_dwordx2 v[4:5], v[0:1], off
	global_load_dwordx2 v[6:7], v[80:81], off offset:4008
	v_add_co_u32_e32 v0, vcc, s18, v0
	v_addc_co_u32_e32 v1, vcc, v1, v12, vcc
	global_load_dwordx2 v[0:1], v[0:1], off
	s_waitcnt vmcnt(1)
	v_mul_f32_e32 v10, v5, v7
	v_fmac_f32_e32 v10, v4, v6
	v_mul_f32_e32 v4, v4, v7
	v_fma_f32 v11, v5, v6, -v4
	v_add_co_u32_e32 v4, vcc, 0x1000, v80
	v_addc_co_u32_e32 v5, vcc, 0, v81, vcc
	global_load_dwordx2 v[4:5], v[4:5], off offset:248
	ds_write2_b64 v3, v[8:9], v[10:11] offset0:203 offset1:245
	s_waitcnt vmcnt(0)
	v_mul_f32_e32 v6, v1, v5
	v_fmac_f32_e32 v6, v0, v4
	v_mul_f32_e32 v0, v0, v5
	v_fma_f32 v7, v1, v4, -v0
	ds_write_b64 v129, v[6:7] offset:4344
.LBB0_3:
	s_or_b64 exec, exec, s[2:3]
	s_waitcnt lgkmcnt(0)
	s_barrier
	ds_read2_b64 v[46:49], v129 offset1:42
	ds_read2_b64 v[38:41], v129 offset0:84 offset1:126
	ds_read2_b64 v[30:33], v129 offset0:168 offset1:210
	;; [unrolled: 1-line block ×5, first 2 shown]
	ds_read_b64 v[20:21], v129 offset:4032
	v_mov_b32_e32 v22, 0
	v_mov_b32_e32 v23, 0
                                        ; implicit-def: $vgpr2
                                        ; implicit-def: $vgpr8
                                        ; implicit-def: $vgpr16
                                        ; implicit-def: $vgpr50
                                        ; implicit-def: $vgpr6
                                        ; implicit-def: $vgpr14
	s_and_saveexec_b64 s[2:3], s[0:1]
	s_cbranch_execz .LBB0_5
; %bb.4:
	v_add_u32_e32 v16, 0x800, v129
	ds_read2_b64 v[22:25], v129 offset0:39 offset1:81
	ds_read2_b64 v[12:15], v129 offset0:123 offset1:165
	;; [unrolled: 1-line block ×6, first 2 shown]
	ds_read_b64 v[50:51], v129 offset:4344
.LBB0_5:
	s_or_b64 exec, exec, s[2:3]
	s_waitcnt lgkmcnt(6)
	v_add_f32_e32 v52, v46, v48
	s_waitcnt lgkmcnt(5)
	v_add_f32_e32 v52, v52, v38
	v_add_f32_e32 v53, v47, v49
	v_add_f32_e32 v52, v52, v40
	v_add_f32_e32 v53, v53, v39
	s_waitcnt lgkmcnt(4)
	v_add_f32_e32 v52, v52, v30
	v_add_f32_e32 v53, v53, v41
	v_add_f32_e32 v52, v52, v32
	;; [unrolled: 5-line block ×5, first 2 shown]
	v_add_f32_e32 v53, v53, v43
	s_waitcnt lgkmcnt(0)
	v_add_f32_e32 v56, v52, v20
	v_add_f32_e32 v52, v20, v48
	v_sub_f32_e32 v20, v48, v20
	v_add_f32_e32 v53, v53, v45
	v_mul_f32_e32 v54, 0xbeedf032, v20
	v_mul_f32_e32 v60, 0xbf52af12, v20
	;; [unrolled: 1-line block ×6, first 2 shown]
	v_add_f32_e32 v57, v53, v21
	v_add_f32_e32 v53, v21, v49
	v_sub_f32_e32 v21, v49, v21
	s_mov_b32 s12, 0x3f62ad3f
	v_mov_b32_e32 v55, v54
	s_mov_b32 s3, 0x3f116cb1
	v_mov_b32_e32 v61, v60
	;; [unrolled: 2-line block ×6, first 2 shown]
	v_mul_f32_e32 v48, 0xbeedf032, v21
	v_fmac_f32_e32 v55, 0x3f62ad3f, v53
	v_fma_f32 v54, v53, s12, -v54
	v_mul_f32_e32 v58, 0xbf52af12, v21
	v_fmac_f32_e32 v61, 0x3f116cb1, v53
	v_fma_f32 v60, v53, s3, -v60
	;; [unrolled: 3-line block ×6, first 2 shown]
	v_fma_f32 v49, v52, s12, -v48
	v_add_f32_e32 v55, v47, v55
	v_fmac_f32_e32 v48, 0x3f62ad3f, v52
	v_add_f32_e32 v54, v47, v54
	v_fma_f32 v59, v52, s3, -v58
	v_add_f32_e32 v61, v47, v61
	v_fmac_f32_e32 v58, 0x3f116cb1, v52
	v_add_f32_e32 v60, v47, v60
	;; [unrolled: 4-line block ×6, first 2 shown]
	v_add_f32_e32 v47, v45, v39
	v_sub_f32_e32 v39, v39, v45
	v_add_f32_e32 v49, v46, v49
	v_add_f32_e32 v48, v46, v48
	;; [unrolled: 1-line block ×13, first 2 shown]
	v_sub_f32_e32 v38, v38, v44
	v_mul_f32_e32 v44, 0xbf52af12, v39
	v_fma_f32 v45, v46, s3, -v44
	v_add_f32_e32 v45, v45, v49
	v_mul_f32_e32 v49, 0xbf52af12, v38
	v_fmac_f32_e32 v44, 0x3f116cb1, v46
	v_mov_b32_e32 v52, v49
	v_add_f32_e32 v44, v44, v48
	v_fma_f32 v48, v47, s3, -v49
	v_mul_f32_e32 v49, 0xbf6f5d39, v39
	v_fma_f32 v53, v46, s13, -v49
	v_fmac_f32_e32 v49, 0xbeb58ec6, v46
	v_fmac_f32_e32 v52, 0x3f116cb1, v47
	v_add_f32_e32 v48, v48, v54
	v_mul_f32_e32 v54, 0xbf6f5d39, v38
	v_add_f32_e32 v49, v49, v58
	v_mul_f32_e32 v58, 0xbe750f2a, v39
	v_add_f32_e32 v52, v52, v55
	v_add_f32_e32 v53, v53, v59
	v_mov_b32_e32 v55, v54
	v_fma_f32 v54, v47, s13, -v54
	v_fma_f32 v59, v46, s18, -v58
	v_fmac_f32_e32 v58, 0xbf788fa5, v46
	v_fmac_f32_e32 v55, 0xbeb58ec6, v47
	v_add_f32_e32 v54, v54, v60
	v_mul_f32_e32 v60, 0xbe750f2a, v38
	v_add_f32_e32 v58, v58, v62
	v_mul_f32_e32 v62, 0x3f29c268, v39
	v_add_f32_e32 v55, v55, v61
	v_add_f32_e32 v59, v59, v63
	v_mov_b32_e32 v61, v60
	v_fma_f32 v60, v47, s18, -v60
	;; [unrolled: 11-line block ×3, first 2 shown]
	v_fma_f32 v67, v46, s2, -v66
	v_fmac_f32_e32 v66, 0x3df6dbef, v46
	v_mul_f32_e32 v39, 0x3eedf032, v39
	v_add_f32_e32 v64, v64, v68
	v_mul_f32_e32 v68, 0x3f7e222b, v38
	v_add_f32_e32 v66, v66, v70
	v_fma_f32 v70, v46, s12, -v39
	v_mul_f32_e32 v38, 0x3eedf032, v38
	v_fmac_f32_e32 v39, 0x3f62ad3f, v46
	v_add_f32_e32 v67, v67, v71
	v_mov_b32_e32 v71, v38
	v_add_f32_e32 v21, v39, v21
	v_fma_f32 v38, v47, s12, -v38
	v_add_f32_e32 v39, v43, v41
	v_sub_f32_e32 v41, v41, v43
	v_add_f32_e32 v20, v38, v20
	v_add_f32_e32 v38, v42, v40
	v_sub_f32_e32 v40, v40, v42
	v_mul_f32_e32 v42, 0xbf7e222b, v41
	v_fma_f32 v43, v38, s2, -v42
	v_fmac_f32_e32 v65, 0xbf3f9e67, v47
	v_add_f32_e32 v43, v43, v45
	v_mul_f32_e32 v45, 0xbf7e222b, v40
	v_fmac_f32_e32 v42, 0x3df6dbef, v38
	v_add_f32_e32 v65, v65, v69
	v_mov_b32_e32 v69, v68
	v_mov_b32_e32 v46, v45
	v_add_f32_e32 v42, v42, v44
	v_fma_f32 v44, v39, s2, -v45
	v_mul_f32_e32 v45, 0xbe750f2a, v41
	v_fmac_f32_e32 v69, 0x3df6dbef, v47
	v_fma_f32 v68, v47, s2, -v68
	v_fmac_f32_e32 v71, 0x3f62ad3f, v47
	v_fmac_f32_e32 v46, 0x3df6dbef, v39
	v_add_f32_e32 v44, v44, v48
	v_fma_f32 v47, v38, s18, -v45
	v_mul_f32_e32 v48, 0xbe750f2a, v40
	v_fmac_f32_e32 v45, 0xbf788fa5, v38
	v_add_f32_e32 v46, v46, v52
	v_mov_b32_e32 v52, v48
	v_add_f32_e32 v45, v45, v49
	v_fma_f32 v48, v39, s18, -v48
	v_mul_f32_e32 v49, 0x3f6f5d39, v41
	v_add_f32_e32 v47, v47, v53
	v_fmac_f32_e32 v52, 0xbf788fa5, v39
	v_add_f32_e32 v48, v48, v54
	v_fma_f32 v53, v38, s13, -v49
	v_mul_f32_e32 v54, 0x3f6f5d39, v40
	v_fmac_f32_e32 v49, 0xbeb58ec6, v38
	v_add_f32_e32 v52, v52, v55
	v_mov_b32_e32 v55, v54
	v_add_f32_e32 v49, v49, v58
	v_fma_f32 v54, v39, s13, -v54
	v_mul_f32_e32 v58, 0x3eedf032, v41
	v_add_f32_e32 v53, v53, v59
	v_fmac_f32_e32 v55, 0xbeb58ec6, v39
	v_add_f32_e32 v54, v54, v60
	v_fma_f32 v59, v38, s12, -v58
	v_mul_f32_e32 v60, 0x3eedf032, v40
	v_fmac_f32_e32 v58, 0x3f62ad3f, v38
	v_add_f32_e32 v55, v55, v61
	v_mov_b32_e32 v61, v60
	v_add_f32_e32 v58, v58, v62
	v_fma_f32 v60, v39, s12, -v60
	v_mul_f32_e32 v62, 0xbf52af12, v41
	v_add_f32_e32 v59, v59, v63
	v_fmac_f32_e32 v61, 0x3f62ad3f, v39
	v_add_f32_e32 v60, v60, v64
	v_fma_f32 v63, v38, s3, -v62
	v_mul_f32_e32 v64, 0xbf52af12, v40
	v_mul_f32_e32 v40, 0xbf29c268, v40
	v_add_f32_e32 v61, v61, v65
	v_add_f32_e32 v63, v63, v67
	v_mov_b32_e32 v65, v64
	v_fmac_f32_e32 v62, 0x3f116cb1, v38
	v_mul_f32_e32 v41, 0xbf29c268, v41
	v_mov_b32_e32 v67, v40
	v_fmac_f32_e32 v65, 0x3f116cb1, v39
	v_add_f32_e32 v62, v62, v66
	v_fma_f32 v64, v39, s3, -v64
	v_fma_f32 v66, v38, s16, -v41
	v_fmac_f32_e32 v67, 0xbf3f9e67, v39
	v_fmac_f32_e32 v41, 0xbf3f9e67, v38
	v_fma_f32 v38, v39, s16, -v40
	v_add_f32_e32 v39, v37, v31
	v_sub_f32_e32 v31, v31, v37
	v_add_f32_e32 v20, v38, v20
	v_add_f32_e32 v38, v36, v30
	v_sub_f32_e32 v30, v30, v36
	v_mul_f32_e32 v36, 0xbf6f5d39, v31
	v_fma_f32 v37, v38, s13, -v36
	v_fmac_f32_e32 v36, 0xbeb58ec6, v38
	v_mul_f32_e32 v40, 0xbf6f5d39, v30
	v_add_f32_e32 v36, v36, v42
	v_mul_f32_e32 v42, 0x3f29c268, v31
	v_add_f32_e32 v21, v41, v21
	v_add_f32_e32 v37, v37, v43
	v_mov_b32_e32 v41, v40
	v_fma_f32 v40, v39, s13, -v40
	v_fma_f32 v43, v38, s16, -v42
	v_fmac_f32_e32 v42, 0xbf3f9e67, v38
	v_fmac_f32_e32 v41, 0xbeb58ec6, v39
	v_add_f32_e32 v40, v40, v44
	v_mul_f32_e32 v44, 0x3f29c268, v30
	v_add_f32_e32 v42, v42, v45
	v_mul_f32_e32 v45, 0x3eedf032, v31
	v_add_f32_e32 v41, v41, v46
	v_add_f32_e32 v43, v43, v47
	v_mov_b32_e32 v46, v44
	v_fma_f32 v44, v39, s16, -v44
	v_fma_f32 v47, v38, s12, -v45
	v_fmac_f32_e32 v45, 0x3f62ad3f, v38
	v_fmac_f32_e32 v46, 0xbf3f9e67, v39
	v_add_f32_e32 v44, v44, v48
	;; [unrolled: 11-line block ×3, first 2 shown]
	v_mul_f32_e32 v54, 0xbf7e222b, v30
	v_add_f32_e32 v49, v49, v58
	v_mul_f32_e32 v58, 0x3e750f2a, v31
	v_add_f32_e32 v52, v52, v55
	v_add_f32_e32 v53, v53, v59
	v_mov_b32_e32 v55, v54
	v_fma_f32 v54, v39, s2, -v54
	v_fma_f32 v59, v38, s18, -v58
	v_fmac_f32_e32 v58, 0xbf788fa5, v38
	v_mul_f32_e32 v31, 0x3f52af12, v31
	v_add_f32_e32 v54, v54, v60
	v_mul_f32_e32 v60, 0x3e750f2a, v30
	v_add_f32_e32 v58, v58, v62
	v_fma_f32 v62, v38, s3, -v31
	v_mul_f32_e32 v30, 0x3f52af12, v30
	v_fmac_f32_e32 v31, 0x3f116cb1, v38
	v_add_f32_e32 v59, v59, v63
	v_mov_b32_e32 v63, v30
	v_add_f32_e32 v21, v31, v21
	v_fma_f32 v30, v39, s3, -v30
	v_add_f32_e32 v31, v35, v33
	v_sub_f32_e32 v33, v33, v35
	v_add_f32_e32 v20, v30, v20
	v_add_f32_e32 v30, v34, v32
	v_sub_f32_e32 v32, v32, v34
	v_mul_f32_e32 v34, 0xbf29c268, v33
	v_fma_f32 v35, v30, s16, -v34
	v_fmac_f32_e32 v55, 0x3df6dbef, v39
	v_add_f32_e32 v35, v35, v37
	v_mul_f32_e32 v37, 0xbf29c268, v32
	v_fmac_f32_e32 v34, 0xbf3f9e67, v30
	v_add_f32_e32 v55, v55, v61
	v_mov_b32_e32 v61, v60
	v_mov_b32_e32 v38, v37
	v_add_f32_e32 v34, v34, v36
	v_fma_f32 v36, v31, s16, -v37
	v_mul_f32_e32 v37, 0x3f7e222b, v33
	v_fmac_f32_e32 v61, 0xbf788fa5, v39
	v_fma_f32 v60, v39, s18, -v60
	v_fmac_f32_e32 v63, 0x3f116cb1, v39
	v_fma_f32 v39, v30, s2, -v37
	v_fmac_f32_e32 v37, 0x3df6dbef, v30
	v_fmac_f32_e32 v38, 0xbf3f9e67, v31
	v_add_f32_e32 v36, v36, v40
	v_mul_f32_e32 v40, 0x3f7e222b, v32
	v_add_f32_e32 v37, v37, v42
	v_mul_f32_e32 v42, 0xbf52af12, v33
	v_add_f32_e32 v38, v38, v41
	v_add_f32_e32 v39, v39, v43
	v_mov_b32_e32 v41, v40
	v_fma_f32 v40, v31, s2, -v40
	v_fma_f32 v43, v30, s3, -v42
	v_fmac_f32_e32 v42, 0x3f116cb1, v30
	v_fmac_f32_e32 v41, 0x3df6dbef, v31
	v_add_f32_e32 v40, v40, v44
	v_mul_f32_e32 v44, 0xbf52af12, v32
	v_add_f32_e32 v42, v42, v45
	v_mul_f32_e32 v45, 0x3e750f2a, v33
	v_add_f32_e32 v41, v41, v46
	v_add_f32_e32 v43, v43, v47
	v_mov_b32_e32 v46, v44
	v_fma_f32 v44, v31, s3, -v44
	v_fma_f32 v47, v30, s18, -v45
	v_fmac_f32_e32 v45, 0xbf788fa5, v30
	v_fmac_f32_e32 v46, 0x3f116cb1, v31
	v_add_f32_e32 v44, v44, v48
	v_mul_f32_e32 v48, 0x3e750f2a, v32
	v_add_f32_e32 v45, v45, v49
	v_mul_f32_e32 v49, 0x3eedf032, v33
	v_add_f32_e32 v46, v46, v52
	v_add_f32_e32 v47, v47, v53
	v_mov_b32_e32 v52, v48
	v_fma_f32 v48, v31, s18, -v48
	v_fma_f32 v53, v30, s12, -v49
	v_fmac_f32_e32 v49, 0x3f62ad3f, v30
	v_mul_f32_e32 v33, 0xbf6f5d39, v33
	v_add_f32_e32 v68, v68, v72
	v_add_f32_e32 v70, v70, v74
	;; [unrolled: 1-line block ×3, first 2 shown]
	v_mul_f32_e32 v54, 0x3eedf032, v32
	v_add_f32_e32 v49, v49, v58
	v_fma_f32 v58, v30, s13, -v33
	v_mul_f32_e32 v32, 0xbf6f5d39, v32
	v_fmac_f32_e32 v33, 0xbeb58ec6, v30
	v_add_f32_e32 v71, v71, v75
	v_add_f32_e32 v64, v64, v68
	;; [unrolled: 1-line block ×4, first 2 shown]
	v_fma_f32 v21, v31, s13, -v32
	v_sub_f32_e32 v68, v27, v29
	v_add_f32_e32 v69, v69, v73
	v_add_f32_e32 v67, v67, v71
	;; [unrolled: 1-line block ×4, first 2 shown]
	v_mul_f32_e32 v20, 0xbe750f2a, v68
	v_add_f32_e32 v65, v65, v69
	v_sub_f32_e32 v69, v26, v28
	v_fma_f32 v21, v72, s18, -v20
	v_add_f32_e32 v28, v21, v35
	v_mul_f32_e32 v21, 0xbe750f2a, v69
	v_add_f32_e32 v73, v29, v27
	v_mov_b32_e32 v26, v21
	v_fmac_f32_e32 v26, 0xbf788fa5, v73
	v_add_f32_e32 v29, v26, v38
	v_fma_f32 v21, v73, s18, -v21
	v_mul_f32_e32 v26, 0x3eedf032, v68
	v_add_f32_e32 v21, v21, v36
	v_fma_f32 v27, v72, s12, -v26
	v_fmac_f32_e32 v26, 0x3f62ad3f, v72
	v_mul_f32_e32 v36, 0x3f52af12, v68
	v_add_f32_e32 v62, v62, v66
	v_fmac_f32_e32 v52, 0xbf788fa5, v31
	v_add_f32_e32 v26, v26, v37
	v_fma_f32 v37, v72, s3, -v36
	v_add_f32_e32 v60, v60, v64
	v_add_f32_e32 v52, v52, v55
	v_mov_b32_e32 v55, v54
	v_fma_f32 v54, v31, s12, -v54
	v_add_f32_e32 v58, v58, v62
	v_add_f32_e32 v62, v37, v47
	v_mul_f32_e32 v37, 0x3f52af12, v69
	v_fmac_f32_e32 v36, 0x3f116cb1, v72
	v_add_f32_e32 v61, v61, v65
	v_fmac_f32_e32 v55, 0x3f62ad3f, v31
	v_add_f32_e32 v54, v54, v60
	v_add_f32_e32 v60, v36, v45
	v_fma_f32 v36, v73, s3, -v37
	v_add_f32_e32 v55, v55, v61
	v_add_f32_e32 v61, v36, v48
	v_mul_f32_e32 v36, 0xbf6f5d39, v68
	v_add_f32_e32 v53, v53, v59
	v_mov_b32_e32 v38, v37
	v_fma_f32 v37, v72, s13, -v36
	v_add_f32_e32 v66, v37, v53
	v_mul_f32_e32 v37, 0xbf6f5d39, v69
	v_fmac_f32_e32 v36, 0xbeb58ec6, v72
	v_mov_b32_e32 v59, v32
	v_add_f32_e32 v32, v27, v39
	v_mul_f32_e32 v27, 0x3eedf032, v69
	v_add_f32_e32 v64, v36, v49
	v_fma_f32 v36, v73, s13, -v37
	v_add_f32_e32 v63, v63, v67
	v_fmac_f32_e32 v59, 0xbeb58ec6, v31
	v_mov_b32_e32 v30, v27
	v_fmac_f32_e32 v38, 0x3f116cb1, v73
	v_add_f32_e32 v65, v36, v54
	v_mul_f32_e32 v36, 0x3f7e222b, v68
	v_add_f32_e32 v59, v59, v63
	v_fmac_f32_e32 v30, 0x3f62ad3f, v73
	v_add_f32_e32 v63, v38, v52
	v_mov_b32_e32 v38, v37
	v_fma_f32 v37, v72, s2, -v36
	v_add_f32_e32 v33, v30, v41
	v_mul_f32_e32 v30, 0xbf29c268, v68
	v_add_f32_e32 v68, v37, v58
	v_mul_f32_e32 v37, 0x3f7e222b, v69
	v_fmac_f32_e32 v36, 0x3df6dbef, v72
	v_fmac_f32_e32 v38, 0xbeb58ec6, v73
	v_add_f32_e32 v70, v36, v70
	v_fma_f32 v36, v73, s2, -v37
	v_add_f32_e32 v67, v38, v55
	v_mov_b32_e32 v38, v37
	v_add_f32_e32 v71, v36, v71
	v_add_f32_e32 v36, v24, v22
	v_add_f32_e32 v37, v25, v23
	v_add_f32_e32 v36, v12, v36
	v_add_f32_e32 v37, v13, v37
	v_add_f32_e32 v36, v14, v36
	v_add_f32_e32 v37, v15, v37
	v_add_f32_e32 v36, v4, v36
	v_add_f32_e32 v37, v5, v37
	v_add_f32_e32 v36, v6, v36
	v_add_f32_e32 v37, v7, v37
	v_add_f32_e32 v36, v0, v36
	v_add_f32_e32 v37, v1, v37
	v_add_f32_e32 v36, v2, v36
	v_add_f32_e32 v37, v3, v37
	v_add_f32_e32 v36, v8, v36
	v_add_f32_e32 v37, v9, v37
	v_fmac_f32_e32 v20, 0xbf788fa5, v72
	v_fma_f32 v31, v72, s16, -v30
	v_add_f32_e32 v36, v10, v36
	v_add_f32_e32 v37, v11, v37
	;; [unrolled: 1-line block ×4, first 2 shown]
	v_mul_f32_e32 v31, 0xbf29c268, v69
	v_add_f32_e32 v36, v16, v36
	v_add_f32_e32 v37, v17, v37
	v_mov_b32_e32 v35, v31
	v_fmac_f32_e32 v38, 0x3df6dbef, v73
	v_add_f32_e32 v36, v18, v36
	v_add_f32_e32 v37, v19, v37
	v_fma_f32 v27, v73, s12, -v27
	v_fmac_f32_e32 v35, 0xbf3f9e67, v73
	v_fmac_f32_e32 v30, 0xbf3f9e67, v72
	v_fma_f32 v31, v73, s16, -v31
	v_add_f32_e32 v69, v38, v59
	v_add_f32_e32 v58, v50, v36
	;; [unrolled: 1-line block ×5, first 2 shown]
	v_sub_f32_e32 v24, v24, v50
	v_sub_f32_e32 v25, v25, v51
	v_add_f32_e32 v27, v27, v40
	v_add_f32_e32 v35, v35, v46
	;; [unrolled: 1-line block ×4, first 2 shown]
	v_mul_f32_e32 v38, 0xbeedf032, v25
	v_mul_f32_e32 v40, 0xbeedf032, v24
	;; [unrolled: 1-line block ×12, first 2 shown]
	v_fma_f32 v39, v36, s12, -v38
	v_mov_b32_e32 v41, v40
	v_fmac_f32_e32 v38, 0x3f62ad3f, v36
	v_fma_f32 v43, v36, s3, -v42
	v_mov_b32_e32 v45, v44
	v_fmac_f32_e32 v42, 0x3f116cb1, v36
	;; [unrolled: 3-line block ×4, first 2 shown]
	v_fma_f32 v55, v36, s16, -v54
	v_fmac_f32_e32 v54, 0xbf3f9e67, v36
	v_fma_f32 v73, v36, s18, -v25
	v_fmac_f32_e32 v25, 0xbf788fa5, v36
	v_mov_b32_e32 v36, v72
	v_mov_b32_e32 v74, v24
	v_fmac_f32_e32 v41, 0x3f62ad3f, v37
	v_fma_f32 v40, v37, s12, -v40
	v_fmac_f32_e32 v45, 0x3f116cb1, v37
	v_fma_f32 v44, v37, s3, -v44
	;; [unrolled: 2-line block ×6, first 2 shown]
	v_add_f32_e32 v37, v39, v22
	v_add_f32_e32 v39, v41, v23
	;; [unrolled: 1-line block ×19, first 2 shown]
	v_sub_f32_e32 v12, v12, v18
	v_mul_f32_e32 v18, 0xbf52af12, v12
	v_add_f32_e32 v38, v38, v22
	v_add_f32_e32 v42, v42, v22
	;; [unrolled: 1-line block ×6, first 2 shown]
	v_sub_f32_e32 v25, v13, v19
	v_add_f32_e32 v13, v19, v13
	v_mov_b32_e32 v19, v18
	v_fmac_f32_e32 v19, 0x3f116cb1, v13
	v_fma_f32 v18, v13, s3, -v18
	v_add_f32_e32 v19, v19, v39
	v_add_f32_e32 v39, v18, v40
	v_mul_f32_e32 v18, 0xbf6f5d39, v25
	v_fma_f32 v40, v24, s13, -v18
	v_mul_f32_e32 v74, 0xbf52af12, v25
	v_add_f32_e32 v40, v40, v41
	v_mul_f32_e32 v41, 0xbf6f5d39, v12
	v_fmac_f32_e32 v18, 0xbeb58ec6, v24
	v_fma_f32 v75, v24, s3, -v74
	v_fmac_f32_e32 v74, 0x3f116cb1, v24
	v_add_f32_e32 v42, v18, v42
	v_fma_f32 v18, v13, s13, -v41
	v_add_f32_e32 v38, v74, v38
	v_mov_b32_e32 v74, v41
	v_add_f32_e32 v41, v18, v44
	v_mul_f32_e32 v18, 0xbe750f2a, v25
	v_fma_f32 v44, v24, s18, -v18
	v_add_f32_e32 v44, v44, v45
	v_mul_f32_e32 v45, 0xbe750f2a, v12
	v_fmac_f32_e32 v18, 0xbf788fa5, v24
	v_fmac_f32_e32 v74, 0xbeb58ec6, v13
	v_add_f32_e32 v46, v18, v46
	v_fma_f32 v18, v13, s18, -v45
	v_add_f32_e32 v43, v74, v43
	v_mov_b32_e32 v74, v45
	v_add_f32_e32 v45, v18, v48
	v_mul_f32_e32 v18, 0x3f29c268, v25
	v_fma_f32 v48, v24, s16, -v18
	v_add_f32_e32 v48, v48, v49
	v_mul_f32_e32 v49, 0x3f29c268, v12
	v_fmac_f32_e32 v18, 0xbf3f9e67, v24
	;; [unrolled: 11-line block ×3, first 2 shown]
	v_fmac_f32_e32 v74, 0xbf3f9e67, v13
	v_add_f32_e32 v54, v18, v54
	v_fma_f32 v18, v13, s2, -v53
	v_mul_f32_e32 v25, 0x3eedf032, v25
	v_add_f32_e32 v51, v74, v51
	v_mov_b32_e32 v74, v53
	v_add_f32_e32 v53, v18, v55
	v_fma_f32 v18, v24, s12, -v25
	v_mul_f32_e32 v12, 0x3eedf032, v12
	v_add_f32_e32 v55, v18, v72
	v_mov_b32_e32 v18, v12
	v_fmac_f32_e32 v74, 0x3df6dbef, v13
	v_fmac_f32_e32 v18, 0x3f62ad3f, v13
	v_fma_f32 v12, v13, s12, -v12
	v_add_f32_e32 v13, v16, v14
	v_sub_f32_e32 v14, v14, v16
	v_fmac_f32_e32 v25, 0x3f62ad3f, v24
	v_add_f32_e32 v12, v12, v23
	v_add_f32_e32 v23, v17, v15
	v_sub_f32_e32 v15, v15, v17
	v_mul_f32_e32 v24, 0xbf7e222b, v14
	v_add_f32_e32 v22, v25, v22
	v_mul_f32_e32 v16, 0xbf7e222b, v15
	v_mov_b32_e32 v25, v24
	v_fma_f32 v17, v13, s2, -v16
	v_fmac_f32_e32 v25, 0x3df6dbef, v23
	v_fmac_f32_e32 v16, 0x3df6dbef, v13
	v_add_f32_e32 v37, v75, v37
	v_add_f32_e32 v19, v25, v19
	v_add_f32_e32 v16, v16, v38
	v_fma_f32 v24, v23, s2, -v24
	v_mul_f32_e32 v25, 0xbe750f2a, v15
	v_mul_f32_e32 v38, 0xbe750f2a, v14
	v_add_f32_e32 v17, v17, v37
	v_add_f32_e32 v24, v24, v39
	v_fma_f32 v37, v13, s18, -v25
	v_mov_b32_e32 v39, v38
	v_fmac_f32_e32 v25, 0xbf788fa5, v13
	v_add_f32_e32 v37, v37, v40
	v_fmac_f32_e32 v39, 0xbf788fa5, v23
	v_add_f32_e32 v25, v25, v42
	v_fma_f32 v38, v23, s18, -v38
	v_mul_f32_e32 v40, 0x3f6f5d39, v15
	v_mul_f32_e32 v42, 0x3f6f5d39, v14
	v_add_f32_e32 v39, v39, v43
	v_add_f32_e32 v38, v38, v41
	v_fma_f32 v41, v13, s13, -v40
	v_mov_b32_e32 v43, v42
	v_fmac_f32_e32 v40, 0xbeb58ec6, v13
	v_add_f32_e32 v41, v41, v44
	v_fmac_f32_e32 v43, 0xbeb58ec6, v23
	v_add_f32_e32 v40, v40, v46
	v_fma_f32 v42, v23, s13, -v42
	v_mul_f32_e32 v44, 0x3eedf032, v15
	v_mul_f32_e32 v46, 0x3eedf032, v14
	v_add_f32_e32 v43, v43, v47
	v_add_f32_e32 v42, v42, v45
	v_fma_f32 v45, v13, s12, -v44
	v_mov_b32_e32 v47, v46
	v_fmac_f32_e32 v44, 0x3f62ad3f, v13
	v_fmac_f32_e32 v47, 0x3f62ad3f, v23
	v_add_f32_e32 v44, v44, v50
	v_mul_f32_e32 v50, 0xbf52af12, v14
	v_add_f32_e32 v47, v47, v51
	v_mov_b32_e32 v51, v50
	v_add_f32_e32 v36, v74, v36
	v_add_f32_e32 v45, v45, v48
	v_fma_f32 v46, v23, s12, -v46
	v_mul_f32_e32 v48, 0xbf52af12, v15
	v_fmac_f32_e32 v51, 0x3f116cb1, v23
	v_mul_f32_e32 v15, 0xbf29c268, v15
	v_add_f32_e32 v46, v46, v49
	v_fma_f32 v49, v13, s3, -v48
	v_add_f32_e32 v36, v51, v36
	v_fma_f32 v51, v13, s16, -v15
	v_mul_f32_e32 v14, 0xbf29c268, v14
	v_fmac_f32_e32 v15, 0xbf3f9e67, v13
	v_add_f32_e32 v49, v49, v52
	v_fmac_f32_e32 v48, 0x3f116cb1, v13
	v_mov_b32_e32 v52, v14
	v_add_f32_e32 v13, v15, v22
	v_fma_f32 v14, v23, s16, -v14
	v_add_f32_e32 v15, v11, v5
	v_sub_f32_e32 v5, v5, v11
	v_add_f32_e32 v12, v14, v12
	v_add_f32_e32 v14, v10, v4
	v_sub_f32_e32 v4, v4, v10
	v_mul_f32_e32 v10, 0xbf6f5d39, v5
	v_fma_f32 v11, v14, s13, -v10
	v_add_f32_e32 v11, v11, v17
	v_mul_f32_e32 v17, 0xbf6f5d39, v4
	v_fmac_f32_e32 v10, 0xbeb58ec6, v14
	v_fma_f32 v50, v23, s3, -v50
	v_fmac_f32_e32 v52, 0xbf3f9e67, v23
	v_add_f32_e32 v10, v10, v16
	v_fma_f32 v16, v15, s13, -v17
	v_mul_f32_e32 v23, 0x3f29c268, v4
	v_mov_b32_e32 v22, v17
	v_add_f32_e32 v16, v16, v24
	v_mov_b32_e32 v24, v23
	v_fma_f32 v23, v15, s16, -v23
	v_fmac_f32_e32 v22, 0xbeb58ec6, v15
	v_mul_f32_e32 v17, 0x3f29c268, v5
	v_fmac_f32_e32 v24, 0xbf3f9e67, v15
	v_add_f32_e32 v23, v23, v38
	v_mul_f32_e32 v38, 0x3eedf032, v4
	v_add_f32_e32 v19, v22, v19
	v_fma_f32 v22, v14, s16, -v17
	v_add_f32_e32 v24, v24, v39
	v_fmac_f32_e32 v17, 0xbf3f9e67, v14
	v_mov_b32_e32 v39, v38
	v_fma_f32 v38, v15, s12, -v38
	v_add_f32_e32 v17, v17, v25
	v_mul_f32_e32 v25, 0x3eedf032, v5
	v_fmac_f32_e32 v39, 0x3f62ad3f, v15
	v_add_f32_e32 v38, v38, v42
	v_mul_f32_e32 v42, 0xbf7e222b, v4
	v_add_f32_e32 v22, v22, v37
	v_fma_f32 v37, v14, s12, -v25
	v_add_f32_e32 v39, v39, v43
	v_fmac_f32_e32 v25, 0x3f62ad3f, v14
	v_mov_b32_e32 v43, v42
	v_fma_f32 v42, v15, s2, -v42
	v_add_f32_e32 v25, v25, v40
	v_mul_f32_e32 v40, 0xbf7e222b, v5
	v_fmac_f32_e32 v43, 0x3df6dbef, v15
	v_add_f32_e32 v42, v42, v46
	v_mul_f32_e32 v46, 0x3e750f2a, v4
	v_add_f32_e32 v37, v37, v41
	v_fma_f32 v41, v14, s2, -v40
	v_add_f32_e32 v43, v43, v47
	v_fmac_f32_e32 v40, 0x3df6dbef, v14
	v_mov_b32_e32 v47, v46
	v_add_f32_e32 v40, v40, v44
	v_mul_f32_e32 v44, 0x3e750f2a, v5
	v_fmac_f32_e32 v47, 0xbf788fa5, v15
	v_mul_f32_e32 v5, 0x3f52af12, v5
	v_add_f32_e32 v48, v48, v54
	v_add_f32_e32 v41, v41, v45
	v_fma_f32 v45, v14, s18, -v44
	v_add_f32_e32 v36, v47, v36
	v_fmac_f32_e32 v44, 0xbf788fa5, v14
	v_fma_f32 v47, v14, s3, -v5
	v_mul_f32_e32 v4, 0x3f52af12, v4
	v_fmac_f32_e32 v5, 0x3f116cb1, v14
	v_add_f32_e32 v44, v44, v48
	v_mov_b32_e32 v48, v4
	v_add_f32_e32 v5, v5, v13
	v_fma_f32 v4, v15, s3, -v4
	v_add_f32_e32 v13, v9, v7
	v_sub_f32_e32 v7, v7, v9
	v_add_f32_e32 v4, v4, v12
	v_add_f32_e32 v12, v8, v6
	v_sub_f32_e32 v6, v6, v8
	v_mul_f32_e32 v8, 0xbf29c268, v7
	v_fma_f32 v9, v12, s16, -v8
	v_add_f32_e32 v9, v9, v11
	v_mul_f32_e32 v11, 0xbf29c268, v6
	v_fmac_f32_e32 v8, 0xbf3f9e67, v12
	v_mov_b32_e32 v14, v11
	v_add_f32_e32 v8, v8, v10
	v_fma_f32 v10, v13, s16, -v11
	v_mul_f32_e32 v11, 0x3f7e222b, v7
	v_fma_f32 v46, v15, s18, -v46
	v_fmac_f32_e32 v48, 0x3f116cb1, v15
	v_fma_f32 v15, v12, s2, -v11
	v_fmac_f32_e32 v11, 0x3df6dbef, v12
	v_add_f32_e32 v11, v11, v17
	v_mul_f32_e32 v17, 0xbf52af12, v7
	v_fmac_f32_e32 v14, 0xbf3f9e67, v13
	v_add_f32_e32 v10, v10, v16
	v_add_f32_e32 v15, v15, v22
	v_mul_f32_e32 v16, 0x3f7e222b, v6
	v_fma_f32 v22, v12, s3, -v17
	v_fmac_f32_e32 v17, 0x3f116cb1, v12
	v_add_f32_e32 v14, v14, v19
	v_mov_b32_e32 v19, v16
	v_fma_f32 v16, v13, s2, -v16
	v_add_f32_e32 v17, v17, v25
	v_mul_f32_e32 v25, 0x3e750f2a, v7
	v_fmac_f32_e32 v19, 0x3df6dbef, v13
	v_add_f32_e32 v16, v16, v23
	v_add_f32_e32 v22, v22, v37
	v_mul_f32_e32 v23, 0xbf52af12, v6
	v_fma_f32 v37, v12, s18, -v25
	v_add_f32_e32 v19, v19, v24
	v_mov_b32_e32 v24, v23
	v_fma_f32 v23, v13, s3, -v23
	v_add_f32_e32 v41, v37, v41
	v_mul_f32_e32 v37, 0x3e750f2a, v6
	v_add_f32_e32 v23, v23, v38
	v_mov_b32_e32 v38, v37
	v_fma_f32 v37, v13, s18, -v37
	v_fmac_f32_e32 v38, 0xbf788fa5, v13
	v_add_f32_e32 v42, v37, v42
	v_mul_f32_e32 v37, 0x3eedf032, v7
	v_add_f32_e32 v45, v45, v49
	v_add_f32_e32 v43, v38, v43
	v_fma_f32 v38, v12, s12, -v37
	v_fmac_f32_e32 v24, 0x3f116cb1, v13
	v_add_f32_e32 v45, v38, v45
	v_mul_f32_e32 v38, 0x3eedf032, v6
	v_add_f32_e32 v24, v24, v39
	v_mov_b32_e32 v39, v38
	v_add_f32_e32 v50, v50, v53
	v_fmac_f32_e32 v39, 0x3f62ad3f, v13
	v_add_f32_e32 v51, v51, v55
	v_add_f32_e32 v46, v46, v50
	;; [unrolled: 1-line block ×3, first 2 shown]
	v_fma_f32 v36, v13, s12, -v38
	v_mul_f32_e32 v7, 0xbf6f5d39, v7
	v_add_f32_e32 v47, v47, v51
	v_add_f32_e32 v46, v36, v46
	v_fma_f32 v36, v12, s13, -v7
	v_mul_f32_e32 v6, 0xbf6f5d39, v6
	v_fmac_f32_e32 v7, 0xbeb58ec6, v12
	v_add_f32_e32 v47, v36, v47
	v_mov_b32_e32 v36, v6
	v_add_f32_e32 v5, v7, v5
	v_fma_f32 v6, v13, s13, -v6
	v_add_f32_e32 v7, v3, v1
	v_sub_f32_e32 v1, v1, v3
	v_add_f32_e32 v4, v6, v4
	v_add_f32_e32 v6, v2, v0
	v_sub_f32_e32 v0, v0, v2
	v_mul_f32_e32 v2, 0xbe750f2a, v1
	v_add_f32_e32 v72, v18, v73
	v_fma_f32 v3, v6, s18, -v2
	v_add_f32_e32 v52, v52, v72
	v_add_f32_e32 v72, v3, v9
	v_mul_f32_e32 v3, 0xbe750f2a, v0
	v_fmac_f32_e32 v2, 0xbf788fa5, v6
	v_add_f32_e32 v123, v2, v8
	v_fma_f32 v2, v7, s18, -v3
	v_add_f32_e32 v124, v2, v10
	v_mul_f32_e32 v2, 0x3eedf032, v1
	v_add_f32_e32 v48, v48, v52
	v_fmac_f32_e32 v36, 0xbeb58ec6, v13
	v_mov_b32_e32 v9, v3
	v_fma_f32 v3, v6, s12, -v2
	v_add_f32_e32 v74, v36, v48
	v_add_f32_e32 v36, v3, v15
	v_mul_f32_e32 v3, 0x3eedf032, v0
	v_fmac_f32_e32 v2, 0x3f62ad3f, v6
	v_add_f32_e32 v54, v2, v11
	v_fma_f32 v2, v7, s12, -v3
	v_add_f32_e32 v55, v2, v16
	v_mul_f32_e32 v2, 0xbf29c268, v1
	v_mov_b32_e32 v8, v3
	v_fma_f32 v3, v6, s16, -v2
	v_add_f32_e32 v38, v3, v22
	v_mul_f32_e32 v3, 0xbf29c268, v0
	v_fmac_f32_e32 v2, 0xbf3f9e67, v6
	v_add_f32_e32 v52, v2, v17
	v_fma_f32 v2, v7, s16, -v3
	v_fmac_f32_e32 v37, 0x3f62ad3f, v12
	v_fmac_f32_e32 v8, 0x3f62ad3f, v7
	v_add_f32_e32 v53, v2, v23
	v_mul_f32_e32 v2, 0x3f52af12, v1
	v_fmac_f32_e32 v25, 0xbf788fa5, v12
	v_add_f32_e32 v44, v37, v44
	v_add_f32_e32 v37, v8, v19
	v_mov_b32_e32 v8, v3
	v_fma_f32 v3, v6, s3, -v2
	v_add_f32_e32 v25, v25, v40
	v_add_f32_e32 v40, v3, v41
	v_mul_f32_e32 v3, 0x3f52af12, v0
	v_fmac_f32_e32 v2, 0x3f116cb1, v6
	v_add_f32_e32 v50, v2, v25
	v_fma_f32 v2, v7, s3, -v3
	v_fmac_f32_e32 v8, 0xbf3f9e67, v7
	v_add_f32_e32 v51, v2, v42
	v_mul_f32_e32 v2, 0xbf6f5d39, v1
	v_add_f32_e32 v39, v8, v24
	v_mov_b32_e32 v8, v3
	v_fma_f32 v3, v6, s13, -v2
	v_fmac_f32_e32 v8, 0x3f116cb1, v7
	v_add_f32_e32 v42, v3, v45
	v_mul_f32_e32 v3, 0xbf6f5d39, v0
	v_add_f32_e32 v41, v8, v43
	v_mov_b32_e32 v8, v3
	v_fmac_f32_e32 v2, 0xbeb58ec6, v6
	s_load_dwordx2 s[4:5], s[4:5], 0x8
	v_fmac_f32_e32 v8, 0xbeb58ec6, v7
	v_add_f32_e32 v48, v2, v44
	v_fma_f32 v2, v7, s13, -v3
	v_mul_f32_e32 v1, 0x3f7e222b, v1
	v_add_f32_e32 v43, v8, v49
	v_add_f32_e32 v49, v2, v46
	v_fma_f32 v2, v6, s2, -v1
	v_mul_f32_e32 v0, 0x3f7e222b, v0
	v_add_f32_e32 v44, v2, v47
	v_mov_b32_e32 v2, v0
	v_fma_f32 v0, v7, s2, -v0
	v_add_co_u32_e32 v18, vcc, 39, v130
	v_fmac_f32_e32 v9, 0xbf788fa5, v7
	v_fmac_f32_e32 v2, 0x3df6dbef, v7
	;; [unrolled: 1-line block ×3, first 2 shown]
	v_add_f32_e32 v47, v0, v4
	v_mul_lo_u16_e32 v0, 13, v130
	v_add_f32_e32 v73, v9, v14
	v_add_f32_e32 v45, v2, v74
	v_add_f32_e32 v46, v1, v5
	v_lshl_add_u32 v140, v0, 3, v131
	v_mul_u32_u24_e32 v134, 13, v18
	s_waitcnt lgkmcnt(0)
	s_barrier
	ds_write2_b64 v140, v[56:57], v[28:29] offset1:1
	ds_write2_b64 v140, v[32:33], v[34:35] offset0:2 offset1:3
	ds_write2_b64 v140, v[62:63], v[66:67] offset0:4 offset1:5
	ds_write2_b64 v140, v[68:69], v[70:71] offset0:6 offset1:7
	ds_write2_b64 v140, v[64:65], v[60:61] offset0:8 offset1:9
	ds_write2_b64 v140, v[30:31], v[26:27] offset0:10 offset1:11
	ds_write_b64 v140, v[20:21] offset:96
	s_and_saveexec_b64 s[2:3], s[0:1]
	s_cbranch_execz .LBB0_7
; %bb.6:
	v_lshl_add_u32 v0, v134, 3, v131
	ds_write2_b64 v0, v[58:59], v[72:73] offset1:1
	ds_write2_b64 v0, v[36:37], v[38:39] offset0:2 offset1:3
	ds_write2_b64 v0, v[40:41], v[42:43] offset0:4 offset1:5
	;; [unrolled: 1-line block ×5, first 2 shown]
	ds_write_b64 v0, v[123:124] offset:96
.LBB0_7:
	s_or_b64 exec, exec, s[2:3]
	v_add_u32_e32 v0, 0x800, v129
	s_waitcnt lgkmcnt(0)
	s_barrier
	ds_read2_b64 v[28:31], v129 offset1:39
	ds_read2_b64 v[10:13], v129 offset0:182 offset1:221
	ds_read2_b64 v[14:17], v0 offset0:108 offset1:147
	ds_read2_b64 v[24:27], v129 offset0:78 offset1:117
	ds_read2_b64 v[32:35], v0 offset0:4 offset1:43
	ds_read2_b64 v[0:3], v0 offset0:186 offset1:225
	v_cmp_gt_u16_e64 s[2:3], 26, v130
	s_and_saveexec_b64 s[12:13], s[2:3]
	s_cbranch_execz .LBB0_9
; %bb.8:
	v_add_u32_e32 v4, 0x400, v129
	ds_read2_b64 v[20:23], v4 offset0:28 offset1:210
	ds_read_b64 v[72:73], v129 offset:4160
	s_waitcnt lgkmcnt(1)
	v_mov_b32_e32 v58, v22
	v_mov_b32_e32 v59, v23
.LBB0_9:
	s_or_b64 exec, exec, s[12:13]
	s_movk_i32 s12, 0x4f
	v_mul_lo_u16_sdwa v4, v130, s12 dst_sel:DWORD dst_unused:UNUSED_PAD src0_sel:BYTE_0 src1_sel:DWORD
	v_lshrrev_b16_e32 v76, 10, v4
	v_mul_lo_u16_e32 v4, 13, v76
	v_sub_u16_e32 v77, v130, v4
	v_mov_b32_e32 v22, 4
	v_lshlrev_b32_sdwa v4, v22, v77 dst_sel:DWORD dst_unused:UNUSED_PAD src0_sel:DWORD src1_sel:BYTE_0
	global_load_dwordx4 v[4:7], v4, s[4:5]
	v_mul_u32_u24_e32 v76, 39, v76
	v_add_u32_sdwa v76, v76, v77 dst_sel:DWORD dst_unused:UNUSED_PAD src0_sel:DWORD src1_sel:BYTE_0
	v_lshl_add_u32 v136, v76, 3, v131
	s_waitcnt vmcnt(0) lgkmcnt(4)
	v_mul_f32_e32 v8, v11, v5
	v_fma_f32 v61, v10, v4, -v8
	s_waitcnt lgkmcnt(3)
	v_mul_f32_e32 v8, v15, v7
	v_fma_f32 v63, v14, v6, -v8
	v_mul_lo_u16_sdwa v8, v18, s12 dst_sel:DWORD dst_unused:UNUSED_PAD src0_sel:BYTE_0 src1_sel:DWORD
	v_lshrrev_b16_e32 v78, 10, v8
	v_mul_lo_u16_e32 v8, 13, v78
	v_sub_u16_e32 v79, v18, v8
	v_mul_f32_e32 v62, v10, v5
	v_lshlrev_b32_sdwa v8, v22, v79 dst_sel:DWORD dst_unused:UNUSED_PAD src0_sel:DWORD src1_sel:BYTE_0
	v_fmac_f32_e32 v62, v11, v4
	global_load_dwordx4 v[8:11], v8, s[4:5]
	v_mul_f32_e32 v64, v14, v7
	v_fmac_f32_e32 v64, v15, v6
	v_add_f32_e32 v57, v61, v63
	v_add_f32_e32 v56, v28, v61
	;; [unrolled: 1-line block ×3, first 2 shown]
	s_waitcnt vmcnt(0)
	v_mul_f32_e32 v14, v13, v9
	v_fma_f32 v65, v12, v8, -v14
	v_mul_f32_e32 v66, v12, v9
	v_mul_f32_e32 v12, v17, v11
	v_fma_f32 v67, v16, v10, -v12
	v_add_u16_e32 v12, 0x4e, v130
	v_fmac_f32_e32 v66, v13, v8
	v_mul_lo_u16_sdwa v13, v12, s12 dst_sel:DWORD dst_unused:UNUSED_PAD src0_sel:BYTE_0 src1_sel:DWORD
	v_lshrrev_b16_e32 v109, 10, v13
	v_mul_lo_u16_e32 v13, 13, v109
	v_sub_u16_e32 v110, v12, v13
	v_lshlrev_b32_sdwa v12, v22, v110 dst_sel:DWORD dst_unused:UNUSED_PAD src0_sel:DWORD src1_sel:BYTE_0
	global_load_dwordx4 v[12:15], v12, s[4:5]
	v_mul_f32_e32 v68, v16, v11
	v_fmac_f32_e32 v68, v17, v10
	s_waitcnt vmcnt(0) lgkmcnt(1)
	v_mul_f32_e32 v16, v33, v13
	v_fma_f32 v71, v32, v12, -v16
	s_waitcnt lgkmcnt(0)
	v_mul_f32_e32 v16, v1, v15
	v_fma_f32 v74, v0, v14, -v16
	v_mul_f32_e32 v75, v0, v15
	v_add_u16_e32 v0, 0x75, v130
	v_fmac_f32_e32 v75, v1, v14
	v_mul_lo_u16_sdwa v1, v0, s12 dst_sel:DWORD dst_unused:UNUSED_PAD src0_sel:BYTE_0 src1_sel:DWORD
	v_lshrrev_b16_e32 v111, 10, v1
	v_mul_lo_u16_e32 v1, 13, v111
	v_sub_u16_e32 v112, v0, v1
	v_lshlrev_b32_sdwa v0, v22, v112 dst_sel:DWORD dst_unused:UNUSED_PAD src0_sel:DWORD src1_sel:BYTE_0
	global_load_dwordx4 v[16:19], v0, s[4:5]
	v_mul_f32_e32 v69, v32, v13
	v_fmac_f32_e32 v69, v33, v12
	s_waitcnt vmcnt(0)
	v_mul_f32_e32 v0, v35, v17
	v_fma_f32 v113, v34, v16, -v0
	v_mul_f32_e32 v34, v34, v17
	v_mul_f32_e32 v0, v3, v19
	v_fmac_f32_e32 v34, v35, v16
	v_fma_f32 v35, v2, v18, -v0
	v_add_u16_e32 v0, 0x9c, v130
	v_mul_lo_u16_sdwa v1, v0, s12 dst_sel:DWORD dst_unused:UNUSED_PAD src0_sel:BYTE_0 src1_sel:DWORD
	v_lshrrev_b16_e32 v115, 10, v1
	v_mul_lo_u16_e32 v1, 13, v115
	v_sub_u16_e32 v133, v0, v1
	v_mul_f32_e32 v114, v2, v19
	v_lshlrev_b32_sdwa v0, v22, v133 dst_sel:DWORD dst_unused:UNUSED_PAD src0_sel:DWORD src1_sel:BYTE_0
	v_fmac_f32_e32 v114, v3, v18
	global_load_dwordx4 v[0:3], v0, s[4:5]
	s_waitcnt vmcnt(0)
	s_barrier
	v_mul_u32_u24_e32 v135, 39, v115
	v_mul_f32_e32 v22, v59, v1
	v_fma_f32 v22, v58, v0, -v22
	v_mul_f32_e32 v23, v58, v1
	v_fma_f32 v58, -0.5, v57, v28
	v_sub_f32_e32 v28, v62, v64
	v_mov_b32_e32 v60, v58
	v_fmac_f32_e32 v60, 0x3f5db3d7, v28
	v_fmac_f32_e32 v58, 0xbf5db3d7, v28
	v_add_f32_e32 v28, v29, v62
	v_add_f32_e32 v57, v28, v64
	;; [unrolled: 1-line block ×3, first 2 shown]
	v_fmac_f32_e32 v23, v59, v0
	v_fma_f32 v59, -0.5, v28, v29
	v_sub_f32_e32 v28, v61, v63
	v_mov_b32_e32 v61, v59
	v_fmac_f32_e32 v61, 0xbf5db3d7, v28
	v_fmac_f32_e32 v59, 0x3f5db3d7, v28
	v_add_f32_e32 v28, v30, v65
	v_add_f32_e32 v62, v28, v67
	;; [unrolled: 1-line block ×3, first 2 shown]
	v_fma_f32 v30, -0.5, v28, v30
	v_sub_f32_e32 v28, v66, v68
	v_mov_b32_e32 v64, v30
	v_fmac_f32_e32 v64, 0x3f5db3d7, v28
	v_fmac_f32_e32 v30, 0xbf5db3d7, v28
	v_add_f32_e32 v28, v31, v66
	v_add_f32_e32 v63, v28, v68
	;; [unrolled: 1-line block ×3, first 2 shown]
	v_fmac_f32_e32 v31, -0.5, v28
	v_sub_f32_e32 v28, v65, v67
	v_mov_b32_e32 v65, v31
	v_fmac_f32_e32 v65, 0xbf5db3d7, v28
	v_fmac_f32_e32 v31, 0x3f5db3d7, v28
	v_add_f32_e32 v28, v24, v71
	v_add_f32_e32 v66, v28, v74
	;; [unrolled: 1-line block ×3, first 2 shown]
	v_fma_f32 v68, -0.5, v28, v24
	v_sub_f32_e32 v24, v69, v75
	v_mov_b32_e32 v70, v68
	v_fmac_f32_e32 v70, 0x3f5db3d7, v24
	v_fmac_f32_e32 v68, 0xbf5db3d7, v24
	v_add_f32_e32 v24, v25, v69
	v_add_f32_e32 v67, v24, v75
	;; [unrolled: 1-line block ×3, first 2 shown]
	v_fma_f32 v69, -0.5, v24, v25
	v_sub_f32_e32 v24, v71, v74
	v_mov_b32_e32 v71, v69
	v_mul_f32_e32 v32, v73, v3
	v_fmac_f32_e32 v71, 0xbf5db3d7, v24
	v_fmac_f32_e32 v69, 0x3f5db3d7, v24
	v_add_f32_e32 v24, v26, v113
	v_fma_f32 v32, v72, v2, -v32
	v_mul_f32_e32 v33, v72, v3
	v_add_f32_e32 v72, v24, v35
	v_add_f32_e32 v24, v113, v35
	v_fma_f32 v26, -0.5, v24, v26
	v_sub_f32_e32 v24, v34, v114
	v_mov_b32_e32 v74, v26
	v_fmac_f32_e32 v74, 0x3f5db3d7, v24
	v_fmac_f32_e32 v26, 0xbf5db3d7, v24
	v_add_f32_e32 v24, v27, v34
	ds_write2_b64 v136, v[56:57], v[60:61] offset1:13
	ds_write_b64 v136, v[58:59] offset:208
	v_mul_u32_u24_e32 v56, 39, v78
	v_fmac_f32_e32 v33, v73, v2
	v_add_f32_e32 v73, v24, v114
	v_add_f32_e32 v24, v34, v114
	v_add_u32_sdwa v56, v56, v79 dst_sel:DWORD dst_unused:UNUSED_PAD src0_sel:DWORD src1_sel:BYTE_0
	v_fmac_f32_e32 v27, -0.5, v24
	v_lshl_add_u32 v137, v56, 3, v131
	v_sub_f32_e32 v24, v113, v35
	v_mov_b32_e32 v75, v27
	ds_write2_b64 v137, v[62:63], v[64:65] offset1:13
	ds_write_b64 v137, v[30:31] offset:208
	v_mul_u32_u24_e32 v30, 39, v109
	v_fmac_f32_e32 v75, 0xbf5db3d7, v24
	v_fmac_f32_e32 v27, 0x3f5db3d7, v24
	v_add_f32_e32 v24, v22, v32
	v_add_f32_e32 v28, v23, v33
	v_add_u32_sdwa v30, v30, v110 dst_sel:DWORD dst_unused:UNUSED_PAD src0_sel:DWORD src1_sel:BYTE_0
	v_fma_f32 v24, -0.5, v24, v20
	v_fma_f32 v28, -0.5, v28, v21
	v_lshl_add_u32 v138, v30, 3, v131
	v_mul_u32_u24_e32 v30, 39, v111
	v_sub_f32_e32 v25, v23, v33
	v_mov_b32_e32 v34, v24
	v_sub_f32_e32 v29, v22, v32
	v_mov_b32_e32 v35, v28
	v_add_u32_sdwa v30, v30, v112 dst_sel:DWORD dst_unused:UNUSED_PAD src0_sel:DWORD src1_sel:BYTE_0
	v_fmac_f32_e32 v34, 0xbf5db3d7, v25
	v_fmac_f32_e32 v35, 0x3f5db3d7, v29
	v_lshl_add_u32 v139, v30, 3, v131
	ds_write2_b64 v138, v[66:67], v[70:71] offset1:13
	ds_write_b64 v138, v[68:69] offset:208
	ds_write2_b64 v139, v[72:73], v[74:75] offset1:13
	ds_write_b64 v139, v[26:27] offset:208
	s_and_saveexec_b64 s[12:13], s[2:3]
	s_cbranch_execz .LBB0_11
; %bb.10:
	v_mul_f32_e32 v26, 0x3f5db3d7, v25
	v_mul_f32_e32 v25, 0x3f5db3d7, v29
	v_add_f32_e32 v21, v21, v23
	v_add_f32_e32 v20, v20, v22
	v_add_u32_sdwa v22, v135, v133 dst_sel:DWORD dst_unused:UNUSED_PAD src0_sel:DWORD src1_sel:BYTE_0
	v_sub_f32_e32 v25, v28, v25
	v_add_f32_e32 v24, v26, v24
	v_add_f32_e32 v21, v21, v33
	;; [unrolled: 1-line block ×3, first 2 shown]
	v_lshl_add_u32 v22, v22, 3, v131
	ds_write2_b64 v22, v[20:21], v[24:25] offset1:13
	ds_write_b64 v22, v[34:35] offset:208
.LBB0_11:
	s_or_b64 exec, exec, s[12:13]
	v_mad_u64_u32 v[32:33], s[4:5], v130, 48, s[4:5]
	s_waitcnt lgkmcnt(0)
	s_barrier
	global_load_dwordx4 v[28:31], v[32:33], off offset:208
	global_load_dwordx4 v[24:27], v[32:33], off offset:224
	;; [unrolled: 1-line block ×3, first 2 shown]
	v_add_u32_e32 v58, 0x400, v129
	ds_read2_b64 v[59:62], v129 offset1:39
	ds_read2_b64 v[63:66], v129 offset0:78 offset1:117
	ds_read2_b64 v[67:70], v129 offset0:156 offset1:195
	v_add_u32_e32 v72, 0x800, v129
	ds_read2_b64 v[73:76], v58 offset0:106 offset1:145
	ds_read2_b64 v[109:112], v72 offset0:56 offset1:95
	;; [unrolled: 1-line block ×4, first 2 shown]
	s_mov_b32 s4, 0x3f5ff5aa
	s_mov_b32 s5, 0x3f3bfb3b
	;; [unrolled: 1-line block ×4, first 2 shown]
	s_waitcnt vmcnt(0) lgkmcnt(0)
	s_barrier
	v_mul_f32_e32 v56, v64, v29
	v_mul_f32_e32 v71, v68, v31
	;; [unrolled: 1-line block ×12, first 2 shown]
	v_fma_f32 v56, v63, v28, -v56
	v_fma_f32 v63, v67, v30, -v71
	v_fmac_f32_e32 v77, v68, v30
	v_fma_f32 v68, v113, v20, -v125
	v_fma_f32 v71, v117, v22, -v127
	v_mul_f32_e32 v79, v73, v25
	v_mul_f32_e32 v122, v109, v27
	;; [unrolled: 1-line block ×4, first 2 shown]
	v_fmac_f32_e32 v57, v64, v28
	v_fma_f32 v64, v73, v24, -v78
	v_fma_f32 v67, v109, v26, -v121
	v_fmac_f32_e32 v126, v114, v20
	v_fmac_f32_e32 v128, v118, v22
	v_fma_f32 v78, v65, v28, -v132
	v_fma_f32 v109, v69, v30, -v142
	v_add_f32_e32 v65, v56, v71
	v_add_f32_e32 v69, v63, v68
	v_fmac_f32_e32 v79, v74, v24
	v_fmac_f32_e32 v122, v110, v26
	;; [unrolled: 1-line block ×4, first 2 shown]
	v_add_f32_e32 v66, v57, v128
	v_sub_f32_e32 v56, v56, v71
	v_add_f32_e32 v70, v77, v126
	v_sub_f32_e32 v63, v63, v68
	;; [unrolled: 2-line block ×3, first 2 shown]
	v_add_f32_e32 v74, v69, v65
	v_mul_f32_e32 v147, v111, v27
	v_mul_f32_e32 v148, v116, v21
	v_sub_f32_e32 v68, v77, v126
	v_add_f32_e32 v73, v79, v122
	v_sub_f32_e32 v67, v122, v79
	v_add_f32_e32 v77, v70, v66
	v_sub_f32_e32 v79, v69, v65
	v_sub_f32_e32 v65, v65, v71
	v_sub_f32_e32 v69, v71, v69
	v_add_f32_e32 v113, v64, v63
	v_add_f32_e32 v71, v71, v74
	v_mul_f32_e32 v146, v112, v27
	v_mul_f32_e32 v149, v115, v21
	v_fmac_f32_e32 v147, v112, v26
	v_fma_f32 v110, v115, v20, -v148
	v_sub_f32_e32 v57, v57, v128
	v_sub_f32_e32 v112, v70, v66
	;; [unrolled: 1-line block ×4, first 2 shown]
	v_add_f32_e32 v114, v67, v68
	v_sub_f32_e32 v115, v64, v63
	v_sub_f32_e32 v64, v56, v64
	;; [unrolled: 1-line block ×3, first 2 shown]
	v_add_f32_e32 v73, v73, v77
	v_add_f32_e32 v74, v113, v56
	;; [unrolled: 1-line block ×3, first 2 shown]
	v_fmac_f32_e32 v149, v116, v20
	v_sub_f32_e32 v116, v67, v68
	v_sub_f32_e32 v67, v57, v67
	;; [unrolled: 1-line block ×3, first 2 shown]
	v_add_f32_e32 v77, v114, v57
	v_add_f32_e32 v57, v60, v73
	v_mov_b32_e32 v117, v56
	v_mul_f32_e32 v59, 0x3f4a47b2, v65
	v_mul_f32_e32 v60, 0x3f4a47b2, v66
	;; [unrolled: 1-line block ×7, first 2 shown]
	v_fmac_f32_e32 v117, 0xbf955555, v71
	v_mov_b32_e32 v71, v57
	v_mul_f32_e32 v145, v75, v25
	v_mul_f32_e32 v150, v120, v23
	;; [unrolled: 1-line block ×3, first 2 shown]
	v_fmac_f32_e32 v71, 0xbf955555, v73
	v_fma_f32 v65, v79, s5, -v65
	v_fma_f32 v66, v112, s5, -v66
	v_fma_f32 v73, v79, s12, -v59
	v_fmac_f32_e32 v59, 0x3d64c772, v69
	v_fma_f32 v69, v112, s12, -v60
	v_fmac_f32_e32 v60, 0x3d64c772, v70
	v_fma_f32 v70, v63, s4, -v113
	v_fma_f32 v68, v68, s4, -v114
	;; [unrolled: 1-line block ×3, first 2 shown]
	v_mul_f32_e32 v144, v76, v25
	v_mul_f32_e32 v151, v119, v23
	v_fmac_f32_e32 v145, v76, v24
	v_fma_f32 v76, v111, v26, -v146
	v_fma_f32 v111, v119, v22, -v150
	v_fmac_f32_e32 v113, 0x3eae86e6, v64
	v_fmac_f32_e32 v114, 0x3eae86e6, v67
	v_fma_f32 v112, v67, s13, -v116
	v_add_f32_e32 v116, v60, v71
	v_add_f32_e32 v67, v65, v117
	;; [unrolled: 1-line block ×4, first 2 shown]
	v_fmac_f32_e32 v70, 0x3ee1c552, v74
	v_fmac_f32_e32 v68, 0x3ee1c552, v77
	;; [unrolled: 1-line block ×3, first 2 shown]
	v_fma_f32 v75, v75, v24, -v144
	v_fmac_f32_e32 v151, v120, v22
	v_add_f32_e32 v115, v59, v117
	v_add_f32_e32 v73, v73, v117
	v_fmac_f32_e32 v113, 0x3ee1c552, v74
	v_fmac_f32_e32 v114, 0x3ee1c552, v77
	;; [unrolled: 1-line block ×3, first 2 shown]
	v_sub_f32_e32 v64, v71, v79
	v_sub_f32_e32 v65, v67, v68
	v_add_f32_e32 v66, v70, v118
	v_add_f32_e32 v67, v68, v67
	v_sub_f32_e32 v68, v118, v70
	v_add_f32_e32 v70, v79, v71
	v_add_f32_e32 v71, v78, v111
	;; [unrolled: 3-line block ×3, first 2 shown]
	v_sub_f32_e32 v60, v116, v113
	v_add_f32_e32 v63, v112, v73
	v_sub_f32_e32 v69, v73, v112
	v_sub_f32_e32 v73, v115, v114
	v_add_f32_e32 v74, v113, v116
	v_add_f32_e32 v77, v141, v151
	;; [unrolled: 1-line block ×7, first 2 shown]
	v_sub_f32_e32 v117, v111, v71
	v_sub_f32_e32 v71, v71, v113
	;; [unrolled: 1-line block ×3, first 2 shown]
	v_add_f32_e32 v113, v113, v115
	v_sub_f32_e32 v79, v141, v151
	v_sub_f32_e32 v109, v109, v110
	;; [unrolled: 1-line block ×8, first 2 shown]
	v_add_f32_e32 v114, v114, v116
	v_add_f32_e32 v61, v61, v113
	;; [unrolled: 1-line block ×4, first 2 shown]
	v_sub_f32_e32 v121, v75, v109
	v_sub_f32_e32 v122, v76, v110
	;; [unrolled: 1-line block ×4, first 2 shown]
	v_add_f32_e32 v62, v62, v114
	v_mov_b32_e32 v125, v61
	v_sub_f32_e32 v75, v78, v75
	v_sub_f32_e32 v76, v79, v76
	v_add_f32_e32 v78, v119, v78
	v_add_f32_e32 v79, v120, v79
	v_mul_f32_e32 v71, 0x3f4a47b2, v71
	v_mul_f32_e32 v77, 0x3f4a47b2, v77
	;; [unrolled: 1-line block ×8, first 2 shown]
	v_fmac_f32_e32 v125, 0xbf955555, v113
	v_mov_b32_e32 v113, v62
	v_fmac_f32_e32 v113, 0xbf955555, v114
	v_fma_f32 v114, v117, s5, -v115
	v_fma_f32 v115, v118, s5, -v116
	;; [unrolled: 1-line block ×3, first 2 shown]
	v_fmac_f32_e32 v71, 0x3d64c772, v111
	v_fma_f32 v111, v118, s12, -v77
	v_fmac_f32_e32 v77, 0x3d64c772, v112
	v_fma_f32 v112, v109, s4, -v119
	v_fmac_f32_e32 v119, 0x3eae86e6, v75
	v_fma_f32 v117, v110, s4, -v120
	v_fmac_f32_e32 v120, 0x3eae86e6, v76
	v_fma_f32 v118, v75, s13, -v121
	v_fma_f32 v121, v76, s13, -v122
	v_add_f32_e32 v71, v71, v125
	v_add_f32_e32 v122, v77, v113
	v_add_f32_e32 v114, v114, v125
	v_add_f32_e32 v115, v115, v113
	v_add_f32_e32 v116, v116, v125
	v_add_f32_e32 v125, v111, v113
	v_fmac_f32_e32 v119, 0x3ee1c552, v78
	v_fmac_f32_e32 v120, 0x3ee1c552, v79
	;; [unrolled: 1-line block ×6, first 2 shown]
	v_add_f32_e32 v75, v120, v71
	v_sub_f32_e32 v76, v122, v119
	v_add_f32_e32 v77, v121, v116
	v_sub_f32_e32 v78, v125, v118
	v_sub_f32_e32 v109, v114, v117
	v_add_f32_e32 v110, v112, v115
	v_add_f32_e32 v111, v117, v114
	v_sub_f32_e32 v112, v115, v112
	v_sub_f32_e32 v113, v116, v121
	v_add_f32_e32 v114, v118, v125
	v_sub_f32_e32 v115, v71, v120
	v_add_f32_e32 v116, v119, v122
	ds_write2_b64 v129, v[56:57], v[59:60] offset1:39
	ds_write2_b64 v129, v[63:64], v[65:66] offset0:78 offset1:117
	ds_write2_b64 v129, v[67:68], v[69:70] offset0:156 offset1:195
	;; [unrolled: 1-line block ×6, first 2 shown]
	v_mul_i32_i24_e32 v57, 0xffffffd8, v130
	v_mul_hi_i32_i24_e32 v56, 0xffffffd8, v130
	v_add_co_u32_e32 v32, vcc, v32, v57
	v_addc_co_u32_e32 v33, vcc, v33, v56, vcc
	s_waitcnt lgkmcnt(0)
	s_barrier
	global_load_dwordx2 v[109:110], v[32:33], off offset:2080
	global_load_dwordx2 v[111:112], v[32:33], off offset:2392
	;; [unrolled: 1-line block ×7, first 2 shown]
	v_mov_b32_e32 v32, s17
	ds_read2_b64 v[59:62], v129 offset1:39
	ds_read2_b64 v[63:66], v58 offset0:106 offset1:145
	ds_read2_b64 v[67:70], v72 offset0:56 offset1:95
	;; [unrolled: 1-line block ×6, first 2 shown]
	v_addc_co_u32_e64 v71, vcc, 0, v32, s[6:7]
	s_movk_i32 s5, 0x1000
	s_movk_i32 s4, 0x1110
	s_waitcnt vmcnt(6) lgkmcnt(5)
	v_mul_f32_e32 v32, v66, v110
	s_waitcnt vmcnt(5) lgkmcnt(4)
	v_mul_f32_e32 v56, v68, v112
	v_fma_f32 v32, v65, v109, -v32
	v_mul_f32_e32 v33, v65, v110
	v_fma_f32 v65, v67, v111, -v56
	s_waitcnt vmcnt(4)
	v_mul_f32_e32 v56, v70, v114
	v_fmac_f32_e32 v33, v66, v109
	v_mul_f32_e32 v66, v67, v112
	v_fma_f32 v67, v69, v113, -v56
	s_waitcnt vmcnt(3) lgkmcnt(2)
	v_mul_f32_e32 v56, v126, v116
	v_fma_f32 v77, v125, v115, -v56
	s_waitcnt vmcnt(2)
	v_mul_f32_e32 v56, v128, v118
	v_fma_f32 v79, v127, v117, -v56
	s_waitcnt vmcnt(1) lgkmcnt(0)
	v_mul_f32_e32 v56, v146, v120
	v_fmac_f32_e32 v66, v68, v111
	v_mul_f32_e32 v68, v69, v114
	v_mul_f32_e32 v78, v125, v116
	;; [unrolled: 1-line block ×3, first 2 shown]
	v_fma_f32 v127, v145, v119, -v56
	s_waitcnt vmcnt(0)
	v_mul_f32_e32 v56, v148, v122
	v_fmac_f32_e32 v68, v70, v113
	v_fmac_f32_e32 v125, v128, v117
	v_mul_f32_e32 v128, v145, v120
	v_fma_f32 v132, v147, v121, -v56
	v_mul_f32_e32 v145, v147, v122
	v_sub_f32_e32 v56, v59, v32
	v_sub_f32_e32 v57, v60, v33
	v_fmac_f32_e32 v78, v126, v115
	v_fmac_f32_e32 v128, v146, v119
	;; [unrolled: 1-line block ×3, first 2 shown]
	v_fma_f32 v59, v59, 2.0, -v56
	v_fma_f32 v60, v60, 2.0, -v57
	v_sub_f32_e32 v67, v73, v67
	v_sub_f32_e32 v68, v74, v68
	;; [unrolled: 1-line block ×3, first 2 shown]
	v_lshl_add_u32 v132, v130, 3, v131
	v_sub_f32_e32 v65, v61, v65
	v_sub_f32_e32 v66, v62, v66
	v_fma_f32 v69, v73, 2.0, -v67
	v_fma_f32 v70, v74, 2.0, -v68
	v_sub_f32_e32 v73, v75, v77
	v_sub_f32_e32 v74, v76, v78
	v_sub_f32_e32 v77, v141, v79
	v_sub_f32_e32 v78, v142, v125
	v_sub_f32_e32 v127, v143, v127
	v_sub_f32_e32 v128, v144, v128
	v_sub_f32_e32 v33, v64, v145
	ds_write_b64 v129, v[59:60]
	v_add_u32_e32 v59, 0x800, v132
	v_fma_f32 v61, v61, 2.0, -v65
	v_fma_f32 v62, v62, 2.0, -v66
	;; [unrolled: 1-line block ×10, first 2 shown]
	ds_write2_b64 v59, v[56:57], v[65:66] offset0:17 offset1:56
	ds_write2_b64 v132, v[61:62], v[69:70] offset0:39 offset1:78
	;; [unrolled: 1-line block ×4, first 2 shown]
	ds_write_b64 v132, v[77:78] offset:3432
	ds_write_b64 v132, v[141:142] offset:1560
	ds_write_b64 v129, v[127:128] offset:3744
	ds_write_b64 v132, v[63:64] offset:1872
	ds_write_b64 v129, v[32:33] offset:4056
	v_add_co_u32_e32 v56, vcc, s5, v80
	v_addc_co_u32_e32 v57, vcc, 0, v71, vcc
	s_waitcnt lgkmcnt(0)
	s_barrier
	global_load_dwordx2 v[64:65], v[56:57], off offset:272
	v_add_co_u32_e32 v56, vcc, s4, v80
	v_addc_co_u32_e32 v57, vcc, 0, v71, vcc
	global_load_dwordx2 v[68:69], v[56:57], off offset:336
	global_load_dwordx2 v[70:71], v[56:57], off offset:672
	;; [unrolled: 1-line block ×12, first 2 shown]
	ds_read2_b64 v[60:63], v129 offset1:42
	s_waitcnt vmcnt(12) lgkmcnt(0)
	v_mul_f32_e32 v66, v61, v65
	v_mul_f32_e32 v152, v60, v65
	v_fma_f32 v151, v60, v64, -v66
	v_fmac_f32_e32 v152, v61, v64
	ds_read2_b64 v[64:67], v129 offset0:84 offset1:126
	s_waitcnt vmcnt(11)
	v_mul_f32_e32 v60, v63, v69
	v_mul_f32_e32 v61, v62, v69
	v_fma_f32 v60, v62, v68, -v60
	v_fmac_f32_e32 v61, v63, v68
	ds_write2_b64 v129, v[151:152], v[60:61] offset1:42
	s_waitcnt vmcnt(10) lgkmcnt(1)
	v_mul_f32_e32 v60, v65, v71
	v_fma_f32 v68, v64, v70, -v60
	ds_read2_b64 v[60:63], v129 offset0:168 offset1:210
	v_mul_f32_e32 v69, v64, v71
	v_fmac_f32_e32 v69, v65, v70
	s_waitcnt vmcnt(9)
	v_mul_f32_e32 v64, v67, v74
	v_mul_f32_e32 v65, v66, v74
	v_fma_f32 v64, v66, v73, -v64
	v_fmac_f32_e32 v65, v67, v73
	ds_write2_b64 v129, v[68:69], v[64:65] offset0:84 offset1:126
	s_waitcnt vmcnt(8) lgkmcnt(1)
	v_mul_f32_e32 v64, v61, v76
	v_fma_f32 v68, v60, v75, -v64
	ds_read2_b64 v[64:67], v58 offset0:124 offset1:166
	v_mul_f32_e32 v69, v60, v76
	v_fmac_f32_e32 v69, v61, v75
	s_waitcnt vmcnt(7)
	v_mul_f32_e32 v60, v63, v78
	v_mul_f32_e32 v61, v62, v78
	v_fma_f32 v60, v62, v77, -v60
	v_fmac_f32_e32 v61, v63, v77
	ds_write2_b64 v129, v[68:69], v[60:61] offset0:168 offset1:210
	;; [unrolled: 12-line block ×3, first 2 shown]
	s_waitcnt vmcnt(4) lgkmcnt(1)
	v_mul_f32_e32 v64, v61, v142
	v_fma_f32 v68, v60, v141, -v64
	ds_read2_b64 v[64:67], v72 offset0:164 offset1:206
	v_mul_f32_e32 v69, v60, v142
	v_fmac_f32_e32 v69, v61, v141
	s_waitcnt vmcnt(3)
	v_mul_f32_e32 v60, v63, v144
	v_mul_f32_e32 v61, v62, v144
	v_fma_f32 v60, v62, v143, -v60
	v_fmac_f32_e32 v61, v63, v143
	ds_read_b64 v[62:63], v129 offset:4032
	ds_write2_b64 v72, v[68:69], v[60:61] offset0:80 offset1:122
	s_waitcnt vmcnt(2) lgkmcnt(2)
	v_mul_f32_e32 v60, v65, v146
	v_mul_f32_e32 v61, v64, v146
	v_fma_f32 v60, v64, v145, -v60
	v_fmac_f32_e32 v61, v65, v145
	s_waitcnt vmcnt(1)
	v_mul_f32_e32 v64, v67, v148
	v_mul_f32_e32 v65, v66, v148
	v_fma_f32 v64, v66, v147, -v64
	v_fmac_f32_e32 v65, v67, v147
	ds_write2_b64 v72, v[60:61], v[64:65] offset0:164 offset1:206
	s_waitcnt vmcnt(0) lgkmcnt(2)
	v_mul_f32_e32 v60, v63, v150
	v_mul_f32_e32 v61, v62, v150
	v_fma_f32 v60, v62, v149, -v60
	v_fmac_f32_e32 v61, v63, v149
	ds_write_b64 v129, v[60:61] offset:4032
	s_and_saveexec_b64 s[4:5], s[0:1]
	s_cbranch_execz .LBB0_13
; %bb.12:
	global_load_dwordx2 v[77:78], v[56:57], off offset:312
	global_load_dwordx2 v[145:146], v[56:57], off offset:648
	;; [unrolled: 1-line block ×12, first 2 shown]
	v_add_co_u32_e32 v56, vcc, 0x1000, v56
	v_addc_co_u32_e32 v57, vcc, 0, v57, vcc
	global_load_dwordx2 v[56:57], v[56:57], off offset:248
	ds_read2_b64 v[60:63], v132 offset0:39 offset1:81
	ds_read2_b64 v[64:67], v132 offset0:123 offset1:165
	;; [unrolled: 1-line block ×6, first 2 shown]
	ds_read_b64 v[167:168], v132 offset:4344
	s_waitcnt vmcnt(12) lgkmcnt(6)
	v_mul_f32_e32 v169, v61, v78
	v_mul_f32_e32 v79, v60, v78
	s_waitcnt vmcnt(11)
	v_mul_f32_e32 v171, v63, v146
	v_mul_f32_e32 v170, v62, v146
	s_waitcnt vmcnt(10) lgkmcnt(5)
	v_mul_f32_e32 v172, v65, v148
	v_mul_f32_e32 v146, v64, v148
	s_waitcnt vmcnt(9)
	v_mul_f32_e32 v173, v67, v150
	v_mul_f32_e32 v148, v66, v150
	;; [unrolled: 6-line block ×6, first 2 shown]
	v_fma_f32 v78, v60, v77, -v169
	v_fmac_f32_e32 v79, v61, v77
	v_fma_f32 v169, v62, v145, -v171
	v_fmac_f32_e32 v170, v63, v145
	;; [unrolled: 2-line block ×12, first 2 shown]
	ds_write2_b64 v132, v[78:79], v[169:170] offset0:39 offset1:81
	ds_write2_b64 v132, v[145:146], v[147:148] offset0:123 offset1:165
	;; [unrolled: 1-line block ×6, first 2 shown]
	s_waitcnt vmcnt(0) lgkmcnt(6)
	v_mul_f32_e32 v59, v168, v57
	v_mul_f32_e32 v60, v167, v57
	v_fma_f32 v59, v167, v56, -v59
	v_fmac_f32_e32 v60, v168, v56
	ds_write_b64 v132, v[59:60] offset:4344
.LBB0_13:
	s_or_b64 exec, exec, s[4:5]
	s_waitcnt lgkmcnt(0)
	s_barrier
	ds_read2_b64 v[76:79], v129 offset1:42
	ds_read2_b64 v[68:71], v129 offset0:84 offset1:126
	ds_read2_b64 v[60:63], v129 offset0:168 offset1:210
	ds_read2_b64 v[56:59], v58 offset0:124 offset1:166
	ds_read2_b64 v[64:67], v72 offset0:80 offset1:122
	ds_read2_b64 v[72:75], v72 offset0:164 offset1:206
	ds_read_b64 v[127:128], v129 offset:4032
	s_and_saveexec_b64 s[4:5], s[0:1]
	s_cbranch_execz .LBB0_15
; %bb.14:
	v_add_u32_e32 v52, 0x800, v132
	ds_read2_b64 v[32:35], v132 offset0:39 offset1:81
	ds_read2_b64 v[36:39], v132 offset0:123 offset1:165
	;; [unrolled: 1-line block ×6, first 2 shown]
	ds_read_b64 v[123:124], v132 offset:4344
.LBB0_15:
	s_or_b64 exec, exec, s[4:5]
	s_waitcnt lgkmcnt(6)
	v_add_f32_e32 v125, v76, v78
	v_add_f32_e32 v126, v77, v79
	s_waitcnt lgkmcnt(5)
	v_add_f32_e32 v125, v125, v68
	v_add_f32_e32 v126, v126, v69
	v_add_f32_e32 v125, v125, v70
	v_add_f32_e32 v126, v126, v71
	s_waitcnt lgkmcnt(4)
	v_add_f32_e32 v125, v125, v60
	v_add_f32_e32 v126, v126, v61
	;; [unrolled: 5-line block ×5, first 2 shown]
	v_add_f32_e32 v125, v125, v74
	s_waitcnt lgkmcnt(0)
	v_add_f32_e32 v142, v128, v79
	v_sub_f32_e32 v79, v79, v128
	v_add_f32_e32 v126, v126, v75
	v_add_f32_e32 v125, v125, v127
	;; [unrolled: 1-line block ×3, first 2 shown]
	v_sub_f32_e32 v78, v78, v127
	v_mul_f32_e32 v127, 0xbeedf032, v79
	v_mul_f32_e32 v145, 0xbf52af12, v79
	;; [unrolled: 1-line block ×6, first 2 shown]
	v_add_f32_e32 v126, v126, v128
	s_mov_b32 s6, 0x3f62ad3f
	v_mov_b32_e32 v128, v127
	s_mov_b32 s7, 0x3f116cb1
	v_mov_b32_e32 v146, v145
	;; [unrolled: 2-line block ×4, first 2 shown]
	v_mov_b32_e32 v158, v157
	s_mov_b32 s17, 0xbf788fa5
	v_mov_b32_e32 v161, v79
	v_fmac_f32_e32 v128, 0x3f62ad3f, v141
	v_mul_f32_e32 v143, 0x3f62ad3f, v142
	v_fma_f32 v127, v141, s6, -v127
	v_fmac_f32_e32 v146, 0x3f116cb1, v141
	v_mul_f32_e32 v147, 0x3f116cb1, v142
	v_fma_f32 v145, v141, s7, -v145
	;; [unrolled: 3-line block ×6, first 2 shown]
	v_add_f32_e32 v128, v76, v128
	v_mov_b32_e32 v144, v143
	v_add_f32_e32 v127, v76, v127
	v_add_f32_e32 v146, v76, v146
	v_mov_b32_e32 v148, v147
	v_add_f32_e32 v145, v76, v145
	;; [unrolled: 3-line block ×6, first 2 shown]
	v_add_f32_e32 v79, v75, v69
	v_sub_f32_e32 v69, v69, v75
	v_fmac_f32_e32 v144, 0x3eedf032, v78
	v_fmac_f32_e32 v143, 0xbeedf032, v78
	;; [unrolled: 1-line block ×12, first 2 shown]
	v_add_f32_e32 v78, v74, v68
	v_sub_f32_e32 v68, v68, v74
	v_mul_f32_e32 v74, 0xbf52af12, v69
	v_mov_b32_e32 v75, v74
	v_fmac_f32_e32 v75, 0x3f116cb1, v78
	v_add_f32_e32 v75, v75, v128
	v_mul_f32_e32 v128, 0x3f116cb1, v79
	v_add_f32_e32 v143, v77, v143
	v_mov_b32_e32 v141, v128
	v_fma_f32 v74, v78, s7, -v74
	v_fmac_f32_e32 v128, 0xbf52af12, v68
	v_add_f32_e32 v74, v74, v127
	v_add_f32_e32 v127, v128, v143
	v_mul_f32_e32 v128, 0xbf6f5d39, v69
	v_add_f32_e32 v144, v77, v144
	v_add_f32_e32 v148, v77, v148
	v_add_f32_e32 v147, v77, v147
	v_add_f32_e32 v152, v77, v152
	v_add_f32_e32 v151, v77, v151
	v_add_f32_e32 v156, v77, v156
	v_add_f32_e32 v155, v77, v155
	v_add_f32_e32 v160, v77, v160
	v_add_f32_e32 v159, v77, v159
	v_add_f32_e32 v162, v77, v162
	v_add_f32_e32 v77, v77, v142
	v_mov_b32_e32 v142, v128
	v_fma_f32 v128, v78, s13, -v128
	v_fmac_f32_e32 v141, 0x3f52af12, v68
	v_fmac_f32_e32 v142, 0xbeb58ec6, v78
	v_mul_f32_e32 v143, 0xbeb58ec6, v79
	v_add_f32_e32 v128, v128, v145
	v_mul_f32_e32 v145, 0xbe750f2a, v69
	v_add_f32_e32 v141, v141, v144
	v_add_f32_e32 v142, v142, v146
	v_mov_b32_e32 v144, v143
	v_fmac_f32_e32 v143, 0xbf6f5d39, v68
	v_mov_b32_e32 v146, v145
	v_fma_f32 v145, v78, s17, -v145
	v_fmac_f32_e32 v144, 0x3f6f5d39, v68
	v_add_f32_e32 v143, v143, v147
	v_fmac_f32_e32 v146, 0xbf788fa5, v78
	v_mul_f32_e32 v147, 0xbf788fa5, v79
	v_add_f32_e32 v145, v145, v149
	v_mul_f32_e32 v149, 0x3f29c268, v69
	v_add_f32_e32 v144, v144, v148
	v_add_f32_e32 v146, v146, v150
	v_mov_b32_e32 v148, v147
	v_fmac_f32_e32 v147, 0xbe750f2a, v68
	v_mov_b32_e32 v150, v149
	v_fma_f32 v149, v78, s16, -v149
	v_fmac_f32_e32 v148, 0x3e750f2a, v68
	v_add_f32_e32 v147, v147, v151
	v_fmac_f32_e32 v150, 0xbf3f9e67, v78
	v_mul_f32_e32 v151, 0xbf3f9e67, v79
	v_add_f32_e32 v149, v149, v153
	v_mul_f32_e32 v153, 0x3f7e222b, v69
	v_add_f32_e32 v148, v148, v152
	v_add_f32_e32 v150, v150, v154
	v_mov_b32_e32 v152, v151
	v_fmac_f32_e32 v151, 0x3f29c268, v68
	v_mov_b32_e32 v154, v153
	v_fmac_f32_e32 v152, 0xbf29c268, v68
	v_add_f32_e32 v151, v151, v155
	v_fmac_f32_e32 v154, 0x3df6dbef, v78
	v_mul_f32_e32 v155, 0x3df6dbef, v79
	v_mul_f32_e32 v79, 0x3f62ad3f, v79
	v_add_f32_e32 v152, v152, v156
	v_add_f32_e32 v154, v154, v158
	v_mov_b32_e32 v156, v155
	v_fma_f32 v153, v78, s12, -v153
	v_mul_f32_e32 v69, 0x3eedf032, v69
	v_mov_b32_e32 v158, v79
	v_fmac_f32_e32 v79, 0x3eedf032, v68
	v_fmac_f32_e32 v156, 0xbf7e222b, v68
	v_add_f32_e32 v153, v153, v157
	v_fmac_f32_e32 v155, 0x3f7e222b, v68
	v_mov_b32_e32 v157, v69
	v_fmac_f32_e32 v158, 0xbeedf032, v68
	v_fma_f32 v69, v78, s6, -v69
	v_add_f32_e32 v68, v79, v77
	v_add_f32_e32 v77, v73, v71
	v_sub_f32_e32 v71, v71, v73
	v_add_f32_e32 v69, v69, v76
	v_add_f32_e32 v76, v72, v70
	v_sub_f32_e32 v70, v70, v72
	v_mul_f32_e32 v72, 0xbf7e222b, v71
	v_mov_b32_e32 v73, v72
	v_fmac_f32_e32 v73, 0x3df6dbef, v76
	v_add_f32_e32 v73, v73, v75
	v_mul_f32_e32 v75, 0x3df6dbef, v77
	v_fmac_f32_e32 v157, 0x3f62ad3f, v78
	v_mov_b32_e32 v78, v75
	v_fma_f32 v72, v76, s12, -v72
	v_fmac_f32_e32 v75, 0xbf7e222b, v70
	v_add_f32_e32 v72, v72, v74
	v_add_f32_e32 v74, v75, v127
	v_mul_f32_e32 v75, 0xbe750f2a, v71
	v_mov_b32_e32 v79, v75
	v_fma_f32 v75, v76, s17, -v75
	v_fmac_f32_e32 v78, 0x3f7e222b, v70
	v_fmac_f32_e32 v79, 0xbf788fa5, v76
	v_mul_f32_e32 v127, 0xbf788fa5, v77
	v_add_f32_e32 v75, v75, v128
	v_mul_f32_e32 v128, 0x3f6f5d39, v71
	v_add_f32_e32 v78, v78, v141
	v_add_f32_e32 v79, v79, v142
	v_mov_b32_e32 v141, v127
	v_fmac_f32_e32 v127, 0xbe750f2a, v70
	v_mov_b32_e32 v142, v128
	v_fma_f32 v128, v76, s13, -v128
	v_fmac_f32_e32 v141, 0x3e750f2a, v70
	v_add_f32_e32 v127, v127, v143
	v_fmac_f32_e32 v142, 0xbeb58ec6, v76
	v_mul_f32_e32 v143, 0xbeb58ec6, v77
	v_add_f32_e32 v128, v128, v145
	v_mul_f32_e32 v145, 0x3eedf032, v71
	v_add_f32_e32 v141, v141, v144
	v_add_f32_e32 v142, v142, v146
	v_mov_b32_e32 v144, v143
	v_fmac_f32_e32 v143, 0x3f6f5d39, v70
	v_mov_b32_e32 v146, v145
	v_fma_f32 v145, v76, s6, -v145
	v_fmac_f32_e32 v144, 0xbf6f5d39, v70
	v_add_f32_e32 v143, v143, v147
	v_fmac_f32_e32 v146, 0x3f62ad3f, v76
	v_mul_f32_e32 v147, 0x3f62ad3f, v77
	v_add_f32_e32 v145, v145, v149
	v_mul_f32_e32 v149, 0xbf52af12, v71
	v_add_f32_e32 v144, v144, v148
	v_add_f32_e32 v146, v146, v150
	v_mov_b32_e32 v148, v147
	v_fmac_f32_e32 v147, 0x3eedf032, v70
	v_mov_b32_e32 v150, v149
	v_fma_f32 v149, v76, s7, -v149
	v_mul_f32_e32 v71, 0xbf29c268, v71
	v_fmac_f32_e32 v148, 0xbeedf032, v70
	v_add_f32_e32 v147, v147, v151
	v_fmac_f32_e32 v150, 0x3f116cb1, v76
	v_mul_f32_e32 v151, 0x3f116cb1, v77
	v_add_f32_e32 v149, v149, v153
	v_mov_b32_e32 v153, v71
	v_mul_f32_e32 v77, 0xbf3f9e67, v77
	v_fma_f32 v71, v76, s16, -v71
	v_add_f32_e32 v148, v148, v152
	v_add_f32_e32 v150, v150, v154
	v_mov_b32_e32 v152, v151
	v_mov_b32_e32 v154, v77
	v_add_f32_e32 v69, v71, v69
	v_add_f32_e32 v71, v67, v61
	v_sub_f32_e32 v61, v61, v67
	v_fmac_f32_e32 v152, 0x3f52af12, v70
	v_fmac_f32_e32 v151, 0xbf52af12, v70
	;; [unrolled: 1-line block ×4, first 2 shown]
	v_add_f32_e32 v70, v66, v60
	v_sub_f32_e32 v60, v60, v66
	v_mul_f32_e32 v66, 0xbf6f5d39, v61
	v_mov_b32_e32 v67, v66
	v_fmac_f32_e32 v67, 0xbeb58ec6, v70
	v_add_f32_e32 v67, v67, v73
	v_mul_f32_e32 v73, 0xbeb58ec6, v71
	v_fmac_f32_e32 v153, 0xbf3f9e67, v76
	v_mov_b32_e32 v76, v73
	v_fma_f32 v66, v70, s13, -v66
	v_fmac_f32_e32 v73, 0xbf6f5d39, v60
	v_add_f32_e32 v68, v77, v68
	v_fmac_f32_e32 v76, 0x3f6f5d39, v60
	v_add_f32_e32 v66, v66, v72
	v_add_f32_e32 v72, v73, v74
	v_mul_f32_e32 v73, 0x3f29c268, v61
	v_mul_f32_e32 v77, 0xbf3f9e67, v71
	v_add_f32_e32 v76, v76, v78
	v_mov_b32_e32 v74, v73
	v_mov_b32_e32 v78, v77
	v_fma_f32 v73, v70, s16, -v73
	v_fmac_f32_e32 v77, 0x3f29c268, v60
	v_fmac_f32_e32 v74, 0xbf3f9e67, v70
	v_add_f32_e32 v73, v73, v75
	v_add_f32_e32 v75, v77, v127
	v_mul_f32_e32 v77, 0x3eedf032, v61
	v_add_f32_e32 v74, v74, v79
	v_mov_b32_e32 v79, v77
	v_fma_f32 v77, v70, s6, -v77
	v_fmac_f32_e32 v78, 0xbf29c268, v60
	v_fmac_f32_e32 v79, 0x3f62ad3f, v70
	v_mul_f32_e32 v127, 0x3f62ad3f, v71
	v_add_f32_e32 v77, v77, v128
	v_mul_f32_e32 v128, 0xbf7e222b, v61
	v_add_f32_e32 v78, v78, v141
	v_add_f32_e32 v79, v79, v142
	v_mov_b32_e32 v141, v127
	v_fmac_f32_e32 v127, 0x3eedf032, v60
	v_mov_b32_e32 v142, v128
	v_fma_f32 v128, v70, s12, -v128
	v_fmac_f32_e32 v141, 0xbeedf032, v60
	v_add_f32_e32 v127, v127, v143
	v_fmac_f32_e32 v142, 0x3df6dbef, v70
	v_mul_f32_e32 v143, 0x3df6dbef, v71
	v_add_f32_e32 v128, v128, v145
	v_mul_f32_e32 v145, 0x3e750f2a, v61
	v_add_f32_e32 v141, v141, v144
	v_add_f32_e32 v142, v142, v146
	v_mov_b32_e32 v144, v143
	v_fmac_f32_e32 v143, 0xbf7e222b, v60
	v_mov_b32_e32 v146, v145
	v_fma_f32 v145, v70, s17, -v145
	v_mul_f32_e32 v61, 0x3f52af12, v61
	v_fmac_f32_e32 v144, 0x3f7e222b, v60
	v_add_f32_e32 v143, v143, v147
	v_fmac_f32_e32 v146, 0xbf788fa5, v70
	v_mul_f32_e32 v147, 0xbf788fa5, v71
	v_add_f32_e32 v145, v145, v149
	v_mov_b32_e32 v149, v61
	v_mul_f32_e32 v71, 0x3f116cb1, v71
	v_fma_f32 v61, v70, s7, -v61
	v_add_f32_e32 v144, v144, v148
	v_add_f32_e32 v146, v146, v150
	v_mov_b32_e32 v148, v147
	v_mov_b32_e32 v150, v71
	v_add_f32_e32 v61, v61, v69
	v_fmac_f32_e32 v71, 0x3f52af12, v60
	v_add_f32_e32 v69, v65, v63
	v_sub_f32_e32 v63, v63, v65
	v_fmac_f32_e32 v148, 0xbe750f2a, v60
	v_fmac_f32_e32 v147, 0x3e750f2a, v60
	;; [unrolled: 1-line block ×3, first 2 shown]
	v_add_f32_e32 v60, v71, v68
	v_add_f32_e32 v68, v64, v62
	v_sub_f32_e32 v62, v62, v64
	v_mul_f32_e32 v64, 0xbf29c268, v63
	v_mov_b32_e32 v65, v64
	v_fmac_f32_e32 v65, 0xbf3f9e67, v68
	v_add_f32_e32 v65, v65, v67
	v_mul_f32_e32 v67, 0xbf3f9e67, v69
	v_fmac_f32_e32 v149, 0x3f116cb1, v70
	v_mov_b32_e32 v70, v67
	v_fma_f32 v64, v68, s16, -v64
	v_fmac_f32_e32 v67, 0xbf29c268, v62
	v_add_f32_e32 v64, v64, v66
	v_add_f32_e32 v66, v67, v72
	v_mul_f32_e32 v67, 0x3f7e222b, v63
	v_mov_b32_e32 v71, v67
	v_fmac_f32_e32 v71, 0x3df6dbef, v68
	v_mul_f32_e32 v72, 0x3df6dbef, v69
	v_fmac_f32_e32 v70, 0x3f29c268, v62
	v_add_f32_e32 v71, v71, v74
	v_mov_b32_e32 v74, v72
	v_fma_f32 v67, v68, s12, -v67
	v_add_f32_e32 v70, v70, v76
	v_fmac_f32_e32 v74, 0xbf7e222b, v62
	v_add_f32_e32 v67, v67, v73
	v_fmac_f32_e32 v72, 0x3f7e222b, v62
	v_mul_f32_e32 v73, 0xbf52af12, v63
	v_mul_f32_e32 v76, 0x3f116cb1, v69
	v_add_f32_e32 v74, v74, v78
	v_add_f32_e32 v72, v72, v75
	v_mov_b32_e32 v75, v73
	v_mov_b32_e32 v78, v76
	v_fma_f32 v73, v68, s7, -v73
	v_fmac_f32_e32 v75, 0x3f116cb1, v68
	v_fmac_f32_e32 v78, 0x3f52af12, v62
	v_add_f32_e32 v73, v73, v77
	v_mul_f32_e32 v77, 0x3e750f2a, v63
	v_add_f32_e32 v155, v155, v159
	v_add_f32_e32 v75, v75, v79
	;; [unrolled: 1-line block ×3, first 2 shown]
	v_mov_b32_e32 v78, v77
	v_add_f32_e32 v157, v157, v161
	v_add_f32_e32 v151, v151, v155
	v_fmac_f32_e32 v78, 0xbf788fa5, v68
	v_add_f32_e32 v158, v158, v162
	v_add_f32_e32 v153, v153, v157
	;; [unrolled: 1-line block ×3, first 2 shown]
	v_fmac_f32_e32 v76, 0xbf52af12, v62
	v_add_f32_e32 v151, v78, v142
	v_mul_f32_e32 v78, 0xbf788fa5, v69
	v_fma_f32 v77, v68, s17, -v77
	v_add_f32_e32 v154, v154, v158
	v_add_f32_e32 v149, v149, v153
	;; [unrolled: 1-line block ×3, first 2 shown]
	v_mov_b32_e32 v127, v78
	v_add_f32_e32 v153, v77, v128
	v_fmac_f32_e32 v78, 0x3e750f2a, v62
	v_mul_f32_e32 v77, 0x3eedf032, v63
	v_add_f32_e32 v150, v150, v154
	v_add_f32_e32 v154, v78, v143
	v_mov_b32_e32 v78, v77
	v_fma_f32 v77, v68, s6, -v77
	v_mul_f32_e32 v63, 0xbf6f5d39, v63
	v_add_f32_e32 v156, v156, v160
	v_fmac_f32_e32 v78, 0x3f62ad3f, v68
	v_add_f32_e32 v157, v77, v145
	v_mov_b32_e32 v77, v63
	v_add_f32_e32 v152, v152, v156
	v_fmac_f32_e32 v127, 0xbe750f2a, v62
	v_add_f32_e32 v155, v78, v146
	v_mul_f32_e32 v78, 0x3f62ad3f, v69
	v_fmac_f32_e32 v77, 0xbeb58ec6, v68
	v_mul_f32_e32 v69, 0xbeb58ec6, v69
	v_fma_f32 v63, v68, s13, -v63
	v_add_f32_e32 v148, v148, v152
	v_add_f32_e32 v152, v127, v144
	v_mov_b32_e32 v127, v78
	v_add_f32_e32 v159, v77, v149
	v_mov_b32_e32 v77, v69
	v_add_f32_e32 v61, v63, v61
	v_add_f32_e32 v63, v59, v57
	v_sub_f32_e32 v59, v57, v59
	v_fmac_f32_e32 v127, 0xbeedf032, v62
	v_fmac_f32_e32 v78, 0x3eedf032, v62
	;; [unrolled: 1-line block ×4, first 2 shown]
	v_add_f32_e32 v62, v58, v56
	v_sub_f32_e32 v58, v56, v58
	v_mul_f32_e32 v56, 0xbe750f2a, v59
	v_mov_b32_e32 v57, v56
	v_fmac_f32_e32 v57, 0xbf788fa5, v62
	v_add_f32_e32 v160, v77, v150
	v_add_f32_e32 v77, v57, v65
	v_mul_f32_e32 v57, 0xbf788fa5, v63
	v_mov_b32_e32 v65, v57
	v_fma_f32 v56, v62, s17, -v56
	v_fmac_f32_e32 v65, 0x3e750f2a, v58
	v_add_f32_e32 v56, v56, v64
	v_mul_f32_e32 v64, 0x3eedf032, v59
	v_add_f32_e32 v158, v78, v147
	v_add_f32_e32 v78, v65, v70
	v_mov_b32_e32 v65, v64
	v_fmac_f32_e32 v65, 0x3f62ad3f, v62
	v_add_f32_e32 v156, v127, v148
	v_fmac_f32_e32 v57, 0xbe750f2a, v58
	v_add_f32_e32 v127, v65, v71
	v_mul_f32_e32 v65, 0x3f62ad3f, v63
	v_fma_f32 v64, v62, s6, -v64
	v_add_f32_e32 v57, v57, v66
	v_mov_b32_e32 v66, v65
	v_add_f32_e32 v141, v64, v67
	v_fmac_f32_e32 v65, 0x3eedf032, v58
	v_mul_f32_e32 v64, 0xbf29c268, v59
	v_add_f32_e32 v142, v65, v72
	v_mov_b32_e32 v65, v64
	v_fmac_f32_e32 v65, 0xbf3f9e67, v62
	v_fmac_f32_e32 v66, 0xbeedf032, v58
	v_add_f32_e32 v143, v65, v75
	v_mul_f32_e32 v65, 0xbf3f9e67, v63
	v_fma_f32 v64, v62, s16, -v64
	v_add_f32_e32 v128, v66, v74
	v_mov_b32_e32 v66, v65
	v_add_f32_e32 v145, v64, v73
	v_fmac_f32_e32 v65, 0xbf29c268, v58
	v_mul_f32_e32 v64, 0x3f52af12, v59
	v_add_f32_e32 v146, v65, v76
	v_mov_b32_e32 v65, v64
	v_fmac_f32_e32 v65, 0x3f116cb1, v62
	v_fmac_f32_e32 v66, 0x3f29c268, v58
	v_add_f32_e32 v147, v65, v151
	v_mul_f32_e32 v65, 0x3f116cb1, v63
	v_fma_f32 v64, v62, s7, -v64
	v_add_f32_e32 v144, v66, v79
	v_mov_b32_e32 v66, v65
	v_add_f32_e32 v149, v64, v153
	v_fmac_f32_e32 v65, 0x3f52af12, v58
	v_mul_f32_e32 v64, 0xbf6f5d39, v59
	v_add_f32_e32 v150, v65, v154
	v_mov_b32_e32 v65, v64
	v_fma_f32 v64, v62, s13, -v64
	v_mul_f32_e32 v59, 0x3f7e222b, v59
	v_fmac_f32_e32 v65, 0xbeb58ec6, v62
	v_add_f32_e32 v153, v64, v157
	v_mov_b32_e32 v64, v59
	v_fmac_f32_e32 v66, 0xbf52af12, v58
	v_add_f32_e32 v151, v65, v155
	v_mul_f32_e32 v65, 0xbeb58ec6, v63
	v_fmac_f32_e32 v64, 0x3df6dbef, v62
	v_mul_f32_e32 v63, 0x3df6dbef, v63
	v_add_f32_e32 v148, v66, v152
	v_mov_b32_e32 v66, v65
	v_add_f32_e32 v155, v64, v159
	v_mov_b32_e32 v64, v63
	v_fma_f32 v59, v62, s12, -v59
	v_add_f32_e32 v60, v69, v60
	v_fmac_f32_e32 v66, 0x3f6f5d39, v58
	v_fmac_f32_e32 v65, 0xbf6f5d39, v58
	;; [unrolled: 1-line block ×3, first 2 shown]
	v_add_f32_e32 v157, v59, v61
	v_fmac_f32_e32 v63, 0x3f7e222b, v58
	v_add_f32_e32 v58, v34, v32
	v_add_f32_e32 v59, v35, v33
	v_sub_f32_e32 v67, v35, v124
	v_add_f32_e32 v154, v65, v158
	v_add_f32_e32 v158, v63, v60
	v_add_f32_e32 v58, v36, v58
	v_add_f32_e32 v59, v37, v59
	v_add_f32_e32 v63, v123, v34
	v_sub_f32_e32 v65, v34, v123
	v_mul_f32_e32 v34, 0xbeedf032, v67
	v_add_f32_e32 v58, v38, v58
	v_add_f32_e32 v59, v39, v59
	;; [unrolled: 1-line block ×3, first 2 shown]
	v_mov_b32_e32 v35, v34
	v_add_f32_e32 v58, v40, v58
	v_add_f32_e32 v59, v41, v59
	v_fmac_f32_e32 v35, 0x3f62ad3f, v63
	v_mul_f32_e32 v62, 0xbeedf032, v65
	v_add_f32_e32 v58, v42, v58
	v_add_f32_e32 v59, v43, v59
	;; [unrolled: 1-line block ×3, first 2 shown]
	v_fma_f32 v35, v71, s6, -v62
	v_sub_f32_e32 v68, v37, v55
	v_add_f32_e32 v58, v44, v58
	v_add_f32_e32 v59, v45, v59
	;; [unrolled: 1-line block ×3, first 2 shown]
	v_mul_f32_e32 v35, 0xbf52af12, v68
	v_add_f32_e32 v152, v66, v156
	v_add_f32_e32 v156, v64, v160
	;; [unrolled: 1-line block ×5, first 2 shown]
	v_sub_f32_e32 v66, v36, v54
	v_mov_b32_e32 v36, v35
	v_add_f32_e32 v58, v48, v58
	v_add_f32_e32 v59, v49, v59
	v_add_f32_e32 v72, v55, v37
	v_fmac_f32_e32 v36, 0x3f116cb1, v64
	v_mul_f32_e32 v37, 0xbf52af12, v66
	v_add_f32_e32 v58, v50, v58
	v_add_f32_e32 v59, v51, v59
	;; [unrolled: 1-line block ×3, first 2 shown]
	v_fma_f32 v36, v72, s7, -v37
	v_sub_f32_e32 v69, v39, v53
	v_add_f32_e32 v58, v52, v58
	v_add_f32_e32 v59, v53, v59
	;; [unrolled: 1-line block ×3, first 2 shown]
	v_mul_f32_e32 v36, 0xbf7e222b, v69
	v_add_f32_e32 v58, v54, v58
	v_add_f32_e32 v59, v55, v59
	;; [unrolled: 1-line block ×3, first 2 shown]
	v_sub_f32_e32 v55, v38, v52
	v_mov_b32_e32 v38, v36
	v_add_f32_e32 v73, v53, v39
	v_fmac_f32_e32 v38, 0x3df6dbef, v54
	v_mul_f32_e32 v39, 0xbf7e222b, v55
	v_add_f32_e32 v60, v38, v60
	v_fma_f32 v38, v73, s12, -v39
	v_sub_f32_e32 v70, v41, v51
	v_add_f32_e32 v61, v38, v61
	v_mul_f32_e32 v38, 0xbf6f5d39, v70
	v_add_f32_e32 v52, v50, v40
	v_sub_f32_e32 v53, v40, v50
	v_mov_b32_e32 v40, v38
	v_add_f32_e32 v74, v51, v41
	v_fmac_f32_e32 v40, 0xbeb58ec6, v52
	v_mul_f32_e32 v41, 0xbf6f5d39, v53
	v_add_f32_e32 v60, v40, v60
	v_fma_f32 v40, v74, s13, -v41
	v_add_f32_e32 v75, v49, v43
	v_sub_f32_e32 v49, v43, v49
	v_add_f32_e32 v61, v40, v61
	v_mul_f32_e32 v40, 0xbf29c268, v49
	v_add_f32_e32 v50, v48, v42
	v_sub_f32_e32 v51, v42, v48
	v_mov_b32_e32 v42, v40
	v_fmac_f32_e32 v42, 0xbf3f9e67, v50
	v_mul_f32_e32 v43, 0xbf29c268, v51
	v_add_f32_e32 v60, v42, v60
	v_fma_f32 v42, v75, s16, -v43
	v_add_f32_e32 v76, v47, v45
	v_sub_f32_e32 v45, v45, v47
	v_add_f32_e32 v61, v42, v61
	v_mul_f32_e32 v42, 0xbe750f2a, v45
	v_add_f32_e32 v48, v46, v44
	v_sub_f32_e32 v46, v44, v46
	v_mov_b32_e32 v44, v42
	v_fmac_f32_e32 v44, 0xbf788fa5, v48
	v_add_f32_e32 v60, v44, v60
	v_mul_f32_e32 v44, 0xbe750f2a, v46
	v_fma_f32 v47, v76, s17, -v44
	v_add_f32_e32 v58, v123, v58
	v_add_f32_e32 v59, v124, v59
	;; [unrolled: 1-line block ×3, first 2 shown]
	s_barrier
	ds_write2_b64 v140, v[125:126], v[77:78] offset1:1
	ds_write2_b64 v140, v[127:128], v[143:144] offset0:2 offset1:3
	ds_write2_b64 v140, v[147:148], v[151:152] offset0:4 offset1:5
	;; [unrolled: 1-line block ×5, first 2 shown]
	ds_write_b64 v140, v[56:57] offset:96
	s_and_saveexec_b64 s[4:5], s[0:1]
	s_cbranch_execz .LBB0_17
; %bb.16:
	v_mul_f32_e32 v140, 0xbf788fa5, v71
	v_mov_b32_e32 v77, v140
	v_mul_f32_e32 v141, 0x3f62ad3f, v72
	v_fmac_f32_e32 v77, 0x3e750f2a, v65
	v_mov_b32_e32 v78, v141
	v_add_f32_e32 v77, v33, v77
	v_fmac_f32_e32 v78, 0xbeedf032, v66
	v_mul_f32_e32 v152, 0xbf3f9e67, v73
	v_add_f32_e32 v77, v78, v77
	v_mov_b32_e32 v78, v152
	v_fmac_f32_e32 v78, 0x3f29c268, v55
	v_mul_f32_e32 v153, 0x3f116cb1, v74
	v_add_f32_e32 v77, v78, v77
	v_mov_b32_e32 v78, v153
	v_fmac_f32_e32 v78, 0xbf52af12, v53
	v_mul_f32_e32 v154, 0xbeb58ec6, v75
	v_add_f32_e32 v77, v78, v77
	v_mov_b32_e32 v78, v154
	v_fmac_f32_e32 v78, 0x3f6f5d39, v51
	v_mul_f32_e32 v155, 0x3df6dbef, v76
	v_add_f32_e32 v77, v78, v77
	v_mov_b32_e32 v78, v155
	v_fmac_f32_e32 v78, 0xbf7e222b, v46
	v_mul_f32_e32 v156, 0xbe750f2a, v67
	v_add_f32_e32 v78, v78, v77
	v_mov_b32_e32 v77, v156
	v_mul_f32_e32 v157, 0x3eedf032, v68
	v_fmac_f32_e32 v77, 0xbf788fa5, v63
	v_mov_b32_e32 v123, v157
	v_add_f32_e32 v77, v32, v77
	v_fmac_f32_e32 v123, 0x3f62ad3f, v64
	v_mul_f32_e32 v158, 0xbf29c268, v69
	v_add_f32_e32 v77, v123, v77
	v_mov_b32_e32 v123, v158
	v_fmac_f32_e32 v123, 0xbf3f9e67, v54
	v_mul_f32_e32 v159, 0x3f52af12, v70
	v_add_f32_e32 v77, v123, v77
	v_mov_b32_e32 v123, v159
	v_fmac_f32_e32 v123, 0x3f116cb1, v52
	v_mul_f32_e32 v160, 0xbf6f5d39, v49
	v_add_f32_e32 v77, v123, v77
	v_mov_b32_e32 v123, v160
	v_fmac_f32_e32 v123, 0xbeb58ec6, v50
	v_mul_f32_e32 v161, 0x3f7e222b, v45
	v_add_f32_e32 v77, v123, v77
	v_mov_b32_e32 v123, v161
	v_fmac_f32_e32 v123, 0x3df6dbef, v48
	v_mul_f32_e32 v162, 0xbf3f9e67, v71
	v_add_f32_e32 v77, v123, v77
	v_mov_b32_e32 v123, v162
	v_mul_f32_e32 v163, 0x3df6dbef, v72
	v_fmac_f32_e32 v123, 0x3f29c268, v65
	v_mov_b32_e32 v124, v163
	v_add_f32_e32 v123, v33, v123
	v_fmac_f32_e32 v124, 0xbf7e222b, v66
	v_mul_f32_e32 v164, 0x3f116cb1, v73
	v_add_f32_e32 v123, v124, v123
	v_mov_b32_e32 v124, v164
	v_fmac_f32_e32 v124, 0x3f52af12, v55
	v_mul_f32_e32 v165, 0xbf788fa5, v74
	v_add_f32_e32 v123, v124, v123
	v_mov_b32_e32 v124, v165
	v_fmac_f32_e32 v124, 0xbe750f2a, v53
	v_mul_f32_e32 v166, 0x3f62ad3f, v75
	v_add_f32_e32 v123, v124, v123
	v_mov_b32_e32 v124, v166
	v_fmac_f32_e32 v124, 0xbeedf032, v51
	v_mul_f32_e32 v167, 0xbeb58ec6, v76
	v_add_f32_e32 v123, v124, v123
	v_mov_b32_e32 v124, v167
	v_fmac_f32_e32 v124, 0x3f6f5d39, v46
	v_mul_f32_e32 v168, 0xbf29c268, v67
	v_add_f32_e32 v124, v124, v123
	v_mov_b32_e32 v123, v168
	v_mul_f32_e32 v169, 0x3f7e222b, v68
	v_fmac_f32_e32 v123, 0xbf3f9e67, v63
	v_mov_b32_e32 v125, v169
	v_add_f32_e32 v123, v32, v123
	v_fmac_f32_e32 v125, 0x3df6dbef, v64
	v_mul_f32_e32 v170, 0xbf52af12, v69
	v_add_f32_e32 v123, v125, v123
	v_mov_b32_e32 v125, v170
	v_fmac_f32_e32 v125, 0x3f116cb1, v54
	v_mul_f32_e32 v171, 0x3e750f2a, v70
	v_add_f32_e32 v123, v125, v123
	v_mov_b32_e32 v125, v171
	v_fmac_f32_e32 v125, 0xbf788fa5, v52
	v_mul_f32_e32 v172, 0x3eedf032, v49
	v_add_f32_e32 v123, v125, v123
	v_mov_b32_e32 v125, v172
	v_fmac_f32_e32 v125, 0x3f62ad3f, v50
	v_mul_f32_e32 v173, 0xbf6f5d39, v45
	v_add_f32_e32 v123, v125, v123
	v_mov_b32_e32 v125, v173
	v_fmac_f32_e32 v125, 0xbeb58ec6, v48
	v_mul_f32_e32 v174, 0xbeb58ec6, v71
	v_add_f32_e32 v123, v125, v123
	v_mov_b32_e32 v125, v174
	v_mul_f32_e32 v175, 0xbf3f9e67, v72
	v_fmac_f32_e32 v125, 0x3f6f5d39, v65
	v_mov_b32_e32 v126, v175
	v_add_f32_e32 v125, v33, v125
	v_fmac_f32_e32 v126, 0xbf29c268, v66
	v_mul_f32_e32 v176, 0x3f62ad3f, v73
	v_add_f32_e32 v125, v126, v125
	v_mov_b32_e32 v126, v176
	v_fmac_f32_e32 v126, 0xbeedf032, v55
	v_mul_f32_e32 v177, 0x3df6dbef, v74
	v_add_f32_e32 v125, v126, v125
	v_mov_b32_e32 v126, v177
	v_fmac_f32_e32 v126, 0x3f7e222b, v53
	v_mul_f32_e32 v178, 0xbf788fa5, v75
	v_add_f32_e32 v125, v126, v125
	v_mov_b32_e32 v126, v178
	v_fmac_f32_e32 v126, 0xbe750f2a, v51
	v_mul_f32_e32 v179, 0x3f116cb1, v76
	v_add_f32_e32 v125, v126, v125
	v_mov_b32_e32 v126, v179
	v_fmac_f32_e32 v126, 0xbf52af12, v46
	v_mul_f32_e32 v180, 0xbf6f5d39, v67
	v_add_f32_e32 v126, v126, v125
	v_mov_b32_e32 v125, v180
	v_mul_f32_e32 v181, 0x3f29c268, v68
	v_fmac_f32_e32 v125, 0xbeb58ec6, v63
	v_mov_b32_e32 v127, v181
	v_add_f32_e32 v125, v32, v125
	v_fmac_f32_e32 v127, 0xbf3f9e67, v64
	v_mul_f32_e32 v182, 0x3eedf032, v69
	v_add_f32_e32 v125, v127, v125
	v_mov_b32_e32 v127, v182
	v_fmac_f32_e32 v127, 0x3f62ad3f, v54
	v_mul_f32_e32 v183, 0xbf7e222b, v70
	v_add_f32_e32 v125, v127, v125
	v_mov_b32_e32 v127, v183
	v_fmac_f32_e32 v127, 0x3df6dbef, v52
	v_mul_f32_e32 v184, 0x3e750f2a, v49
	v_add_f32_e32 v125, v127, v125
	v_mov_b32_e32 v127, v184
	v_fmac_f32_e32 v127, 0xbf788fa5, v50
	v_mul_f32_e32 v185, 0x3f52af12, v45
	v_add_f32_e32 v125, v127, v125
	v_mov_b32_e32 v127, v185
	v_fmac_f32_e32 v127, 0x3f116cb1, v48
	v_mul_f32_e32 v186, 0x3df6dbef, v71
	v_add_f32_e32 v125, v127, v125
	v_mov_b32_e32 v127, v186
	v_mul_f32_e32 v187, 0xbf788fa5, v72
	v_fmac_f32_e32 v127, 0x3f7e222b, v65
	v_mov_b32_e32 v128, v187
	v_add_f32_e32 v127, v33, v127
	v_fmac_f32_e32 v128, 0x3e750f2a, v66
	v_mul_f32_e32 v188, 0xbeb58ec6, v73
	v_add_f32_e32 v127, v128, v127
	v_mov_b32_e32 v128, v188
	v_fmac_f32_e32 v128, 0xbf6f5d39, v55
	v_mul_f32_e32 v189, 0x3f62ad3f, v74
	v_add_f32_e32 v127, v128, v127
	v_mov_b32_e32 v128, v189
	v_fmac_f32_e32 v128, 0xbeedf032, v53
	v_mul_f32_e32 v190, 0x3f116cb1, v75
	v_add_f32_e32 v127, v128, v127
	v_mov_b32_e32 v128, v190
	v_fmac_f32_e32 v128, 0x3f52af12, v51
	v_mul_f32_e32 v191, 0xbf3f9e67, v76
	v_add_f32_e32 v127, v128, v127
	v_mov_b32_e32 v128, v191
	v_fmac_f32_e32 v128, 0x3f29c268, v46
	v_mul_f32_e32 v192, 0xbf7e222b, v67
	v_add_f32_e32 v128, v128, v127
	v_mov_b32_e32 v127, v192
	v_mul_f32_e32 v193, 0xbe750f2a, v68
	v_fmac_f32_e32 v127, 0x3df6dbef, v63
	v_mov_b32_e32 v194, v193
	v_add_f32_e32 v127, v32, v127
	v_fmac_f32_e32 v194, 0xbf788fa5, v64
	v_add_f32_e32 v127, v194, v127
	v_mul_f32_e32 v194, 0x3f6f5d39, v69
	v_mov_b32_e32 v195, v194
	v_fmac_f32_e32 v195, 0xbeb58ec6, v54
	v_add_f32_e32 v127, v195, v127
	v_mul_f32_e32 v195, 0x3eedf032, v70
	v_mov_b32_e32 v196, v195
	v_fmac_f32_e32 v196, 0x3f62ad3f, v52
	v_add_f32_e32 v127, v196, v127
	v_mul_f32_e32 v196, 0xbf52af12, v49
	v_mul_f32_e32 v203, 0xbf52af12, v67
	v_mov_b32_e32 v197, v196
	v_mov_b32_e32 v67, v203
	v_mul_f32_e32 v204, 0xbf6f5d39, v68
	v_fmac_f32_e32 v197, 0x3f116cb1, v50
	v_fmac_f32_e32 v67, 0x3f116cb1, v63
	v_mov_b32_e32 v68, v204
	v_add_f32_e32 v127, v197, v127
	v_mul_f32_e32 v197, 0xbf29c268, v45
	v_add_f32_e32 v67, v32, v67
	v_fmac_f32_e32 v68, 0xbeb58ec6, v64
	v_mul_f32_e32 v69, 0xbe750f2a, v69
	v_mov_b32_e32 v198, v197
	v_add_f32_e32 v67, v68, v67
	v_mov_b32_e32 v68, v69
	v_fmac_f32_e32 v198, 0xbf3f9e67, v48
	v_fmac_f32_e32 v68, 0xbf788fa5, v54
	v_mul_f32_e32 v205, 0x3f29c268, v70
	v_add_f32_e32 v127, v198, v127
	v_mul_f32_e32 v198, 0x3f116cb1, v71
	v_add_f32_e32 v67, v68, v67
	v_mov_b32_e32 v68, v205
	v_mul_f32_e32 v79, 0x3f62ad3f, v71
	v_mov_b32_e32 v71, v198
	v_mul_f32_e32 v199, 0xbeb58ec6, v72
	v_fmac_f32_e32 v68, 0xbf3f9e67, v52
	v_mul_f32_e32 v49, 0x3f7e222b, v49
	v_mul_f32_e32 v143, 0x3f116cb1, v72
	v_fmac_f32_e32 v71, 0x3f52af12, v65
	v_mov_b32_e32 v72, v199
	v_add_f32_e32 v67, v68, v67
	v_mov_b32_e32 v68, v49
	v_add_f32_e32 v71, v33, v71
	v_fmac_f32_e32 v72, 0x3f6f5d39, v66
	v_mul_f32_e32 v200, 0xbf788fa5, v73
	v_fmac_f32_e32 v68, 0x3df6dbef, v50
	v_mul_f32_e32 v45, 0x3eedf032, v45
	v_add_f32_e32 v71, v72, v71
	v_mov_b32_e32 v72, v200
	v_add_f32_e32 v67, v68, v67
	v_mov_b32_e32 v68, v45
	v_fmac_f32_e32 v72, 0x3e750f2a, v55
	v_mul_f32_e32 v201, 0xbf3f9e67, v74
	v_fmac_f32_e32 v68, 0x3f62ad3f, v48
	v_fmac_f32_e32 v140, 0xbe750f2a, v65
	v_add_f32_e32 v71, v72, v71
	v_mov_b32_e32 v72, v201
	v_add_f32_e32 v70, v68, v67
	v_add_f32_e32 v67, v33, v140
	v_fmac_f32_e32 v141, 0x3eedf032, v66
	v_fmac_f32_e32 v72, 0xbf29c268, v53
	v_mul_f32_e32 v202, 0x3df6dbef, v75
	v_add_f32_e32 v67, v141, v67
	v_fmac_f32_e32 v152, 0xbf29c268, v55
	v_add_f32_e32 v71, v72, v71
	v_mov_b32_e32 v72, v202
	v_add_f32_e32 v67, v152, v67
	v_fmac_f32_e32 v153, 0x3f52af12, v53
	v_mul_f32_e32 v151, 0xbf788fa5, v76
	v_fmac_f32_e32 v72, 0xbf7e222b, v51
	v_mul_f32_e32 v76, 0x3f62ad3f, v76
	v_add_f32_e32 v67, v153, v67
	v_fmac_f32_e32 v154, 0xbf6f5d39, v51
	v_add_f32_e32 v71, v72, v71
	v_mov_b32_e32 v72, v76
	v_add_f32_e32 v67, v154, v67
	v_fmac_f32_e32 v155, 0x3f7e222b, v46
	v_fmac_f32_e32 v72, 0xbeedf032, v46
	v_add_f32_e32 v68, v155, v67
	v_fma_f32 v67, v63, s17, -v156
	v_add_f32_e32 v71, v72, v71
	v_add_f32_e32 v67, v32, v67
	v_fma_f32 v72, v64, s6, -v157
	v_add_f32_e32 v67, v72, v67
	v_fma_f32 v72, v54, s16, -v158
	;; [unrolled: 2-line block ×5, first 2 shown]
	v_fmac_f32_e32 v162, 0xbf29c268, v65
	v_add_f32_e32 v67, v72, v67
	v_add_f32_e32 v72, v33, v162
	v_fmac_f32_e32 v163, 0x3f7e222b, v66
	v_add_f32_e32 v72, v163, v72
	v_fmac_f32_e32 v164, 0xbf52af12, v55
	;; [unrolled: 2-line block ×5, first 2 shown]
	v_mul_f32_e32 v145, 0x3df6dbef, v73
	v_add_f32_e32 v73, v167, v72
	v_fma_f32 v72, v63, s16, -v168
	v_mul_f32_e32 v147, 0xbeb58ec6, v74
	v_add_f32_e32 v72, v32, v72
	v_fma_f32 v74, v64, s12, -v169
	v_add_f32_e32 v72, v74, v72
	v_fma_f32 v74, v54, s7, -v170
	;; [unrolled: 2-line block ×5, first 2 shown]
	v_fmac_f32_e32 v174, 0xbf6f5d39, v65
	v_add_f32_e32 v72, v74, v72
	v_add_f32_e32 v74, v33, v174
	v_fmac_f32_e32 v175, 0x3f29c268, v66
	v_add_f32_e32 v74, v175, v74
	v_fmac_f32_e32 v176, 0x3eedf032, v55
	;; [unrolled: 2-line block ×5, first 2 shown]
	v_mul_f32_e32 v149, 0xbf3f9e67, v75
	v_add_f32_e32 v75, v179, v74
	v_fma_f32 v74, v63, s13, -v180
	v_add_f32_e32 v74, v32, v74
	v_fma_f32 v140, v64, s16, -v181
	;; [unrolled: 2-line block ×6, first 2 shown]
	v_fmac_f32_e32 v186, 0xbf7e222b, v65
	v_add_f32_e32 v74, v140, v74
	v_add_f32_e32 v140, v33, v186
	v_fmac_f32_e32 v187, 0xbe750f2a, v66
	v_add_f32_e32 v140, v187, v140
	v_fmac_f32_e32 v188, 0x3f6f5d39, v55
	;; [unrolled: 2-line block ×4, first 2 shown]
	v_fmac_f32_e32 v198, 0xbf52af12, v65
	v_add_f32_e32 v140, v190, v140
	v_fmac_f32_e32 v191, 0xbf29c268, v46
	v_add_f32_e32 v65, v33, v198
	;; [unrolled: 2-line block ×3, first 2 shown]
	v_fma_f32 v140, v63, s12, -v192
	v_add_f32_e32 v65, v199, v65
	v_fmac_f32_e32 v200, 0xbe750f2a, v55
	v_add_f32_e32 v140, v32, v140
	v_fma_f32 v152, v64, s17, -v193
	v_add_f32_e32 v55, v200, v65
	v_fmac_f32_e32 v201, 0x3f29c268, v53
	v_add_f32_e32 v140, v152, v140
	v_fma_f32 v152, v54, s13, -v194
	v_add_f32_e32 v53, v201, v55
	v_fmac_f32_e32 v202, 0x3f7e222b, v51
	v_mul_f32_e32 v47, 0x3f62ad3f, v63
	v_add_f32_e32 v140, v152, v140
	v_fma_f32 v152, v52, s6, -v195
	v_add_f32_e32 v51, v202, v53
	v_fmac_f32_e32 v76, 0x3eedf032, v46
	v_mul_f32_e32 v142, 0x3f116cb1, v64
	v_add_f32_e32 v140, v152, v140
	v_fma_f32 v152, v50, s7, -v196
	v_add_f32_e32 v46, v76, v51
	v_fma_f32 v51, v63, s7, -v203
	v_sub_f32_e32 v34, v47, v34
	v_mul_f32_e32 v144, 0x3df6dbef, v54
	v_mul_f32_e32 v150, 0xbf788fa5, v48
	v_add_f32_e32 v140, v152, v140
	v_fma_f32 v152, v48, s16, -v197
	v_add_f32_e32 v51, v32, v51
	v_fma_f32 v45, v48, s6, -v45
	v_add_f32_e32 v48, v62, v79
	v_add_f32_e32 v32, v32, v34
	v_sub_f32_e32 v34, v142, v35
	v_mul_f32_e32 v146, 0xbeb58ec6, v52
	v_fma_f32 v53, v64, s13, -v204
	v_add_f32_e32 v33, v33, v48
	v_add_f32_e32 v37, v37, v143
	;; [unrolled: 1-line block ×3, first 2 shown]
	v_sub_f32_e32 v34, v144, v36
	v_mul_f32_e32 v148, 0xbf3f9e67, v50
	v_add_f32_e32 v51, v53, v51
	v_fma_f32 v53, v54, s17, -v69
	v_add_f32_e32 v33, v37, v33
	v_add_f32_e32 v37, v39, v145
	v_add_f32_e32 v32, v34, v32
	v_sub_f32_e32 v34, v146, v38
	v_add_f32_e32 v51, v53, v51
	v_fma_f32 v52, v52, s16, -v205
	v_add_f32_e32 v33, v37, v33
	v_add_f32_e32 v37, v41, v147
	v_add_f32_e32 v32, v34, v32
	v_sub_f32_e32 v34, v148, v40
	;; [unrolled: 6-line block ×3, first 2 shown]
	v_add_f32_e32 v49, v49, v51
	v_add_f32_e32 v33, v37, v33
	;; [unrolled: 1-line block ×4, first 2 shown]
	v_lshl_add_u32 v34, v134, 3, v131
	v_add_f32_e32 v140, v152, v140
	v_add_f32_e32 v45, v45, v49
	;; [unrolled: 1-line block ×3, first 2 shown]
	ds_write2_b64 v34, v[58:59], v[60:61] offset1:1
	ds_write2_b64 v34, v[70:71], v[127:128] offset0:2 offset1:3
	ds_write2_b64 v34, v[125:126], v[123:124] offset0:4 offset1:5
	;; [unrolled: 1-line block ×5, first 2 shown]
	ds_write_b64 v34, v[32:33] offset:96
.LBB0_17:
	s_or_b64 exec, exec, s[4:5]
	v_add_u32_e32 v40, 0x800, v129
	s_waitcnt lgkmcnt(0)
	s_barrier
	ds_read2_b64 v[36:39], v129 offset1:39
	ds_read2_b64 v[52:55], v129 offset0:182 offset1:221
	ds_read2_b64 v[48:51], v40 offset0:108 offset1:147
	;; [unrolled: 1-line block ×5, first 2 shown]
	s_and_saveexec_b64 s[4:5], s[2:3]
	s_cbranch_execz .LBB0_19
; %bb.18:
	v_add_u32_e32 v56, 0x400, v129
	ds_read2_b64 v[56:59], v56 offset0:28 offset1:210
	ds_read_b64 v[60:61], v129 offset:4160
.LBB0_19:
	s_or_b64 exec, exec, s[4:5]
	s_waitcnt lgkmcnt(4)
	v_mul_f32_e32 v64, v5, v53
	v_mul_f32_e32 v5, v5, v52
	v_fmac_f32_e32 v64, v4, v52
	v_fma_f32 v52, v4, v53, -v5
	s_waitcnt lgkmcnt(3)
	v_mul_f32_e32 v53, v7, v49
	v_fmac_f32_e32 v53, v6, v48
	v_mul_f32_e32 v4, v7, v48
	v_add_f32_e32 v5, v64, v53
	v_fma_f32 v7, v6, v49, -v4
	v_mul_f32_e32 v48, v9, v55
	v_mul_f32_e32 v4, v9, v54
	v_fma_f32 v6, -0.5, v5, v36
	v_fmac_f32_e32 v48, v8, v54
	v_fma_f32 v49, v8, v55, -v4
	v_sub_f32_e32 v5, v52, v7
	v_mov_b32_e32 v8, v6
	v_fmac_f32_e32 v8, 0xbf5db3d7, v5
	v_fmac_f32_e32 v6, 0x3f5db3d7, v5
	v_add_f32_e32 v5, v37, v52
	v_mul_f32_e32 v54, v11, v51
	v_mul_f32_e32 v4, v11, v50
	v_add_f32_e32 v5, v5, v7
	v_add_f32_e32 v7, v52, v7
	v_fmac_f32_e32 v54, v10, v50
	v_fma_f32 v50, v10, v51, -v4
	s_waitcnt lgkmcnt(1)
	v_mul_f32_e32 v51, v13, v45
	v_mul_f32_e32 v4, v13, v44
	v_fma_f32 v7, -0.5, v7, v37
	v_fmac_f32_e32 v51, v12, v44
	v_fma_f32 v44, v12, v45, -v4
	s_waitcnt lgkmcnt(0)
	v_mul_f32_e32 v45, v15, v41
	v_sub_f32_e32 v10, v64, v53
	v_mov_b32_e32 v9, v7
	v_add_f32_e32 v11, v48, v54
	v_fmac_f32_e32 v45, v14, v40
	v_mul_f32_e32 v4, v15, v40
	v_fmac_f32_e32 v9, 0x3f5db3d7, v10
	v_fmac_f32_e32 v7, 0xbf5db3d7, v10
	v_add_f32_e32 v10, v38, v48
	v_fma_f32 v38, -0.5, v11, v38
	v_fma_f32 v40, v14, v41, -v4
	v_mul_f32_e32 v41, v17, v47
	v_mul_f32_e32 v4, v17, v46
	v_sub_f32_e32 v11, v49, v50
	v_mov_b32_e32 v12, v38
	v_add_f32_e32 v13, v49, v50
	v_add_f32_e32 v15, v51, v45
	v_fmac_f32_e32 v41, v16, v46
	v_fma_f32 v46, v16, v47, -v4
	v_mul_f32_e32 v47, v19, v43
	v_mul_f32_e32 v4, v19, v42
	v_fmac_f32_e32 v12, 0xbf5db3d7, v11
	v_fmac_f32_e32 v38, 0x3f5db3d7, v11
	v_add_f32_e32 v11, v39, v49
	v_fmac_f32_e32 v39, -0.5, v13
	v_fma_f32 v16, -0.5, v15, v32
	v_add_f32_e32 v17, v44, v40
	v_fmac_f32_e32 v47, v18, v42
	v_fma_f32 v42, v18, v43, -v4
	v_sub_f32_e32 v14, v48, v54
	v_mov_b32_e32 v13, v39
	v_sub_f32_e32 v15, v44, v40
	v_mov_b32_e32 v18, v16
	v_fma_f32 v17, -0.5, v17, v33
	v_fmac_f32_e32 v13, 0x3f5db3d7, v14
	v_fmac_f32_e32 v39, 0xbf5db3d7, v14
	v_add_f32_e32 v14, v32, v51
	v_fmac_f32_e32 v18, 0xbf5db3d7, v15
	v_fmac_f32_e32 v16, 0x3f5db3d7, v15
	v_add_f32_e32 v15, v33, v44
	v_sub_f32_e32 v32, v51, v45
	v_mov_b32_e32 v19, v17
	v_add_f32_e32 v33, v41, v47
	v_fmac_f32_e32 v19, 0x3f5db3d7, v32
	v_fmac_f32_e32 v17, 0xbf5db3d7, v32
	v_add_f32_e32 v32, v34, v41
	v_fma_f32 v34, -0.5, v33, v34
	v_add_f32_e32 v4, v36, v64
	v_sub_f32_e32 v33, v46, v42
	v_mov_b32_e32 v36, v34
	v_add_f32_e32 v37, v46, v42
	v_fmac_f32_e32 v36, 0xbf5db3d7, v33
	v_fmac_f32_e32 v34, 0x3f5db3d7, v33
	v_add_f32_e32 v33, v35, v46
	v_fmac_f32_e32 v35, -0.5, v37
	v_add_u32_e32 v63, 0x618, v129
	v_add_u32_e32 v62, 0x750, v129
	v_add_f32_e32 v4, v4, v53
	v_add_f32_e32 v15, v15, v40
	v_sub_f32_e32 v40, v41, v47
	v_mov_b32_e32 v37, v35
	v_add_f32_e32 v10, v10, v54
	v_add_f32_e32 v11, v11, v50
	;; [unrolled: 1-line block ×5, first 2 shown]
	v_fmac_f32_e32 v37, 0x3f5db3d7, v40
	v_fmac_f32_e32 v35, 0xbf5db3d7, v40
	s_barrier
	ds_write2_b64 v136, v[4:5], v[8:9] offset1:13
	ds_write_b64 v136, v[6:7] offset:208
	ds_write2_b64 v137, v[10:11], v[12:13] offset1:13
	ds_write_b64 v137, v[38:39] offset:208
	;; [unrolled: 2-line block ×4, first 2 shown]
	s_and_saveexec_b64 s[4:5], s[2:3]
	s_cbranch_execz .LBB0_21
; %bb.20:
	v_mul_f32_e32 v4, v1, v58
	v_fma_f32 v5, v0, v59, -v4
	v_mul_f32_e32 v4, v3, v60
	v_fma_f32 v6, v2, v61, -v4
	v_add_f32_e32 v4, v6, v5
	v_mul_f32_e32 v7, v1, v59
	v_mul_f32_e32 v8, v3, v61
	v_fma_f32 v4, -0.5, v4, v57
	v_fmac_f32_e32 v7, v0, v58
	v_fmac_f32_e32 v8, v2, v60
	v_sub_f32_e32 v2, v7, v8
	v_mov_b32_e32 v1, v4
	v_fmac_f32_e32 v1, 0xbf5db3d7, v2
	v_fmac_f32_e32 v4, 0x3f5db3d7, v2
	v_add_f32_e32 v2, v5, v57
	v_add_f32_e32 v0, v8, v7
	v_sub_f32_e32 v9, v5, v6
	v_add_f32_e32 v6, v6, v2
	v_add_f32_e32 v2, v56, v7
	v_fma_f32 v3, -0.5, v0, v56
	v_add_f32_e32 v5, v8, v2
	v_add_u32_sdwa v2, v135, v133 dst_sel:DWORD dst_unused:UNUSED_PAD src0_sel:DWORD src1_sel:BYTE_0
	v_mov_b32_e32 v0, v3
	v_fmac_f32_e32 v3, 0xbf5db3d7, v9
	v_lshl_add_u32 v2, v2, 3, v131
	v_fmac_f32_e32 v0, 0x3f5db3d7, v9
	ds_write2_b64 v2, v[5:6], v[3:4] offset1:13
	ds_write_b64 v2, v[0:1] offset:208
.LBB0_21:
	s_or_b64 exec, exec, s[4:5]
	s_waitcnt lgkmcnt(0)
	s_barrier
	ds_read2_b64 v[4:7], v129 offset1:39
	ds_read2_b64 v[8:11], v129 offset0:78 offset1:117
	ds_read2_b64 v[12:15], v129 offset0:156 offset1:195
	v_add_u32_e32 v3, 0x400, v129
	ds_read2_b64 v[16:19], v3 offset0:106 offset1:145
	v_add_u32_e32 v2, 0x800, v129
	s_waitcnt lgkmcnt(2)
	v_mul_f32_e32 v44, v29, v9
	v_fmac_f32_e32 v44, v28, v8
	v_mul_f32_e32 v8, v29, v8
	v_fma_f32 v8, v28, v9, -v8
	s_waitcnt lgkmcnt(1)
	v_mul_f32_e32 v9, v31, v13
	ds_read2_b64 v[32:35], v2 offset0:56 offset1:95
	ds_read2_b64 v[36:39], v2 offset0:134 offset1:173
	;; [unrolled: 1-line block ×3, first 2 shown]
	v_fmac_f32_e32 v9, v30, v12
	v_mul_f32_e32 v12, v31, v12
	v_fma_f32 v12, v30, v13, -v12
	s_waitcnt lgkmcnt(3)
	v_mul_f32_e32 v13, v25, v17
	v_fmac_f32_e32 v13, v24, v16
	v_mul_f32_e32 v16, v25, v16
	v_fma_f32 v16, v24, v17, -v16
	s_waitcnt lgkmcnt(2)
	v_mul_f32_e32 v17, v27, v33
	;; [unrolled: 5-line block ×4, first 2 shown]
	v_fmac_f32_e32 v37, v22, v40
	v_mul_f32_e32 v40, v23, v40
	v_fma_f32 v40, v22, v41, -v40
	v_mul_f32_e32 v41, v29, v11
	v_fmac_f32_e32 v41, v28, v10
	v_mul_f32_e32 v10, v29, v10
	v_fma_f32 v28, v28, v11, -v10
	v_mul_f32_e32 v29, v31, v15
	v_mul_f32_e32 v10, v31, v14
	v_fmac_f32_e32 v29, v30, v14
	v_fma_f32 v30, v30, v15, -v10
	v_mul_f32_e32 v31, v25, v19
	v_mul_f32_e32 v10, v25, v18
	v_fmac_f32_e32 v31, v24, v18
	;; [unrolled: 4-line block ×5, first 2 shown]
	v_fma_f32 v22, v22, v43, -v10
	v_add_f32_e32 v10, v44, v37
	v_add_f32_e32 v15, v9, v33
	;; [unrolled: 1-line block ×5, first 2 shown]
	v_sub_f32_e32 v13, v17, v13
	v_add_f32_e32 v17, v15, v10
	v_add_f32_e32 v23, v16, v32
	v_sub_f32_e32 v16, v32, v16
	v_add_f32_e32 v32, v18, v11
	v_add_f32_e32 v17, v19, v17
	v_sub_f32_e32 v8, v8, v40
	v_sub_f32_e32 v9, v9, v33
	;; [unrolled: 1-line block ×6, first 2 shown]
	v_add_f32_e32 v19, v23, v32
	v_add_f32_e32 v4, v4, v17
	v_mad_u64_u32 v[0:1], s[2:3], s10, v94, 0
	v_sub_f32_e32 v14, v44, v37
	v_sub_f32_e32 v34, v18, v11
	;; [unrolled: 1-line block ×4, first 2 shown]
	v_add_f32_e32 v35, v13, v9
	v_add_f32_e32 v36, v16, v12
	v_sub_f32_e32 v37, v13, v9
	v_sub_f32_e32 v38, v16, v12
	;; [unrolled: 1-line block ×3, first 2 shown]
	v_add_f32_e32 v5, v5, v19
	v_mov_b32_e32 v39, v4
	v_sub_f32_e32 v13, v14, v13
	v_sub_f32_e32 v16, v8, v16
	;; [unrolled: 1-line block ×3, first 2 shown]
	v_add_f32_e32 v14, v35, v14
	v_add_f32_e32 v8, v36, v8
	v_mul_f32_e32 v10, 0x3f4a47b2, v10
	v_mul_f32_e32 v11, 0x3f4a47b2, v11
	;; [unrolled: 1-line block ×6, first 2 shown]
	s_mov_b32 s2, 0xbf5ff5aa
	v_mul_f32_e32 v38, 0xbf5ff5aa, v12
	v_fmac_f32_e32 v39, 0xbf955555, v17
	v_mov_b32_e32 v17, v5
	s_mov_b32 s3, 0x3f3bfb3b
	s_mov_b32 s4, 0xbf3bfb3b
	;; [unrolled: 1-line block ×3, first 2 shown]
	v_fmac_f32_e32 v17, 0xbf955555, v19
	v_fma_f32 v19, v33, s3, -v23
	v_fma_f32 v23, v34, s3, -v32
	;; [unrolled: 1-line block ×3, first 2 shown]
	v_fmac_f32_e32 v10, 0x3d64c772, v15
	v_fma_f32 v15, v34, s4, -v11
	v_fmac_f32_e32 v11, 0x3d64c772, v18
	v_fma_f32 v18, v9, s2, -v35
	v_fma_f32 v33, v12, s2, -v36
	v_fmac_f32_e32 v36, 0xbeae86e6, v16
	v_fma_f32 v16, v16, s5, -v38
	v_mul_f32_e32 v37, 0xbf5ff5aa, v9
	v_add_f32_e32 v23, v23, v17
	v_add_f32_e32 v32, v32, v39
	v_fmac_f32_e32 v18, 0xbee1c552, v14
	v_fmac_f32_e32 v16, 0xbee1c552, v8
	;; [unrolled: 1-line block ×3, first 2 shown]
	v_fma_f32 v34, v13, s5, -v37
	v_add_f32_e32 v37, v10, v39
	v_add_f32_e32 v38, v11, v17
	;; [unrolled: 1-line block ×4, first 2 shown]
	v_fmac_f32_e32 v33, 0xbee1c552, v8
	v_add_f32_e32 v10, v16, v32
	v_add_f32_e32 v13, v18, v23
	v_sub_f32_e32 v15, v23, v18
	v_sub_f32_e32 v16, v32, v16
	v_add_f32_e32 v23, v41, v21
	v_add_f32_e32 v32, v28, v22
	v_sub_f32_e32 v22, v28, v22
	v_add_f32_e32 v28, v29, v27
	v_fmac_f32_e32 v35, 0xbee1c552, v14
	v_fmac_f32_e32 v34, 0xbee1c552, v14
	v_sub_f32_e32 v12, v19, v33
	v_add_f32_e32 v14, v33, v19
	v_add_f32_e32 v33, v30, v20
	v_sub_f32_e32 v27, v29, v27
	v_sub_f32_e32 v20, v30, v20
	v_add_f32_e32 v29, v31, v25
	v_add_f32_e32 v30, v24, v26
	v_sub_f32_e32 v24, v26, v24
	v_add_f32_e32 v26, v28, v23
	v_sub_f32_e32 v25, v25, v31
	v_add_f32_e32 v31, v33, v32
	v_add_f32_e32 v26, v29, v26
	v_fmac_f32_e32 v36, 0xbee1c552, v8
	v_sub_f32_e32 v11, v17, v34
	v_add_f32_e32 v17, v34, v17
	v_sub_f32_e32 v21, v41, v21
	v_sub_f32_e32 v34, v28, v23
	;; [unrolled: 1-line block ×4, first 2 shown]
	v_add_f32_e32 v29, v30, v31
	v_add_f32_e32 v6, v6, v26
	;; [unrolled: 1-line block ×3, first 2 shown]
	v_sub_f32_e32 v9, v38, v35
	v_sub_f32_e32 v18, v37, v36
	v_add_f32_e32 v19, v35, v38
	v_sub_f32_e32 v35, v33, v32
	v_sub_f32_e32 v32, v32, v30
	;; [unrolled: 1-line block ×3, first 2 shown]
	v_add_f32_e32 v36, v25, v27
	v_add_f32_e32 v37, v24, v20
	v_sub_f32_e32 v38, v25, v27
	v_sub_f32_e32 v39, v24, v20
	;; [unrolled: 1-line block ×4, first 2 shown]
	v_add_f32_e32 v7, v7, v29
	v_mov_b32_e32 v40, v6
	v_sub_f32_e32 v25, v21, v25
	v_sub_f32_e32 v24, v22, v24
	v_add_f32_e32 v21, v36, v21
	v_add_f32_e32 v22, v37, v22
	v_mul_f32_e32 v23, 0x3f4a47b2, v23
	v_mul_f32_e32 v30, 0x3f4a47b2, v32
	;; [unrolled: 1-line block ×8, first 2 shown]
	v_fmac_f32_e32 v40, 0xbf955555, v26
	v_mov_b32_e32 v26, v7
	v_fmac_f32_e32 v26, 0xbf955555, v29
	v_fma_f32 v29, v34, s3, -v31
	v_fma_f32 v31, v35, s3, -v32
	;; [unrolled: 1-line block ×3, first 2 shown]
	v_fmac_f32_e32 v23, 0x3d64c772, v28
	v_fma_f32 v28, v35, s4, -v30
	v_fmac_f32_e32 v30, 0x3d64c772, v33
	v_fma_f32 v27, v27, s2, -v36
	;; [unrolled: 2-line block ×4, first 2 shown]
	v_fma_f32 v35, v24, s5, -v39
	v_add_f32_e32 v38, v23, v40
	v_add_f32_e32 v39, v30, v26
	;; [unrolled: 1-line block ×6, first 2 shown]
	v_fmac_f32_e32 v36, 0xbee1c552, v21
	v_fmac_f32_e32 v37, 0xbee1c552, v22
	;; [unrolled: 1-line block ×6, first 2 shown]
	v_add_f32_e32 v20, v37, v38
	v_sub_f32_e32 v21, v39, v36
	v_add_f32_e32 v22, v35, v31
	v_sub_f32_e32 v23, v32, v34
	v_sub_f32_e32 v24, v29, v33
	v_add_f32_e32 v25, v27, v30
	v_add_f32_e32 v26, v33, v29
	v_sub_f32_e32 v27, v30, v27
	v_sub_f32_e32 v28, v31, v35
	v_add_f32_e32 v29, v34, v32
	v_sub_f32_e32 v30, v38, v37
	v_add_f32_e32 v31, v36, v39
	s_barrier
	ds_write2_b64 v129, v[4:5], v[8:9] offset1:39
	ds_write2_b64 v129, v[10:11], v[12:13] offset0:78 offset1:117
	ds_write2_b64 v129, v[14:15], v[16:17] offset0:156 offset1:195
	;; [unrolled: 1-line block ×6, first 2 shown]
	s_waitcnt lgkmcnt(0)
	s_barrier
	ds_read2_b64 v[4:7], v129 offset1:39
	ds_read2_b64 v[8:11], v3 offset0:106 offset1:145
	ds_read2_b64 v[12:15], v2 offset0:56 offset1:95
	;; [unrolled: 1-line block ×6, first 2 shown]
	s_waitcnt lgkmcnt(5)
	v_mul_f32_e32 v32, v110, v11
	v_fmac_f32_e32 v32, v109, v10
	v_mul_f32_e32 v10, v110, v10
	v_fma_f32 v11, v109, v11, -v10
	s_waitcnt lgkmcnt(4)
	v_mul_f32_e32 v10, v112, v12
	v_mul_f32_e32 v33, v112, v13
	v_fma_f32 v13, v111, v13, -v10
	v_mul_f32_e32 v10, v114, v14
	v_mul_f32_e32 v34, v114, v15
	v_fma_f32 v15, v113, v15, -v10
	s_waitcnt lgkmcnt(2)
	v_mul_f32_e32 v10, v116, v20
	v_mul_f32_e32 v35, v116, v21
	v_fma_f32 v21, v115, v21, -v10
	v_mul_f32_e32 v10, v118, v22
	;; [unrolled: 7-line block ×3, first 2 shown]
	v_fmac_f32_e32 v33, v111, v12
	v_mul_f32_e32 v38, v122, v31
	v_fma_f32 v31, v121, v31, -v10
	v_sub_f32_e32 v10, v4, v32
	v_sub_f32_e32 v11, v5, v11
	v_fmac_f32_e32 v34, v113, v14
	v_fmac_f32_e32 v35, v115, v20
	v_fmac_f32_e32 v36, v117, v22
	v_fmac_f32_e32 v37, v119, v28
	v_fmac_f32_e32 v38, v121, v30
	v_fma_f32 v4, v4, 2.0, -v10
	v_fma_f32 v5, v5, 2.0, -v11
	v_sub_f32_e32 v12, v6, v33
	v_sub_f32_e32 v13, v7, v13
	v_fma_f32 v6, v6, 2.0, -v12
	v_fma_f32 v7, v7, 2.0, -v13
	v_sub_f32_e32 v14, v16, v34
	v_sub_f32_e32 v15, v17, v15
	;; [unrolled: 1-line block ×10, first 2 shown]
	ds_write_b64 v129, v[4:5]
	v_add_u32_e32 v4, 0x800, v132
	v_fma_f32 v16, v16, 2.0, -v14
	v_fma_f32 v17, v17, 2.0, -v15
	v_fma_f32 v18, v18, 2.0, -v20
	v_fma_f32 v19, v19, 2.0, -v21
	v_fma_f32 v24, v24, 2.0, -v22
	v_fma_f32 v25, v25, 2.0, -v23
	v_fma_f32 v26, v26, 2.0, -v28
	v_fma_f32 v27, v27, 2.0, -v29
	v_fma_f32 v8, v8, 2.0, -v30
	v_fma_f32 v9, v9, 2.0, -v31
	ds_write2_b64 v4, v[10:11], v[12:13] offset0:17 offset1:56
	ds_write2_b64 v132, v[6:7], v[16:17] offset0:39 offset1:78
	;; [unrolled: 1-line block ×4, first 2 shown]
	ds_write_b64 v132, v[22:23] offset:3432
	ds_write_b64 v132, v[26:27] offset:1560
	;; [unrolled: 1-line block ×5, first 2 shown]
	s_waitcnt lgkmcnt(0)
	s_barrier
	ds_read2_b64 v[4:7], v129 offset1:42
	s_mov_b32 s2, 0x1e01e01e
	s_mov_b32 s3, 0x3f5e01e0
	v_mad_u64_u32 v[10:11], s[4:5], s8, v130, 0
	s_waitcnt lgkmcnt(0)
	v_mul_f32_e32 v8, v106, v5
	v_fmac_f32_e32 v8, v105, v4
	v_mul_f32_e32 v4, v106, v4
	v_fma_f32 v4, v105, v5, -v4
	v_cvt_f64_f32_e32 v[8:9], v8
	v_cvt_f64_f32_e32 v[4:5], v4
	v_mad_u64_u32 v[12:13], s[4:5], s11, v94, v[1:2]
	v_mul_f64 v[8:9], v[8:9], s[2:3]
	v_mul_f64 v[4:5], v[4:5], s[2:3]
	v_mov_b32_e32 v1, v11
	v_mad_u64_u32 v[13:14], s[4:5], s9, v130, v[1:2]
	v_mov_b32_e32 v1, v12
	v_lshlrev_b64 v[0:1], 3, v[0:1]
	v_mov_b32_e32 v11, v13
	v_cvt_f32_f64_e32 v8, v[8:9]
	v_cvt_f32_f64_e32 v9, v[4:5]
	v_mul_f32_e32 v4, v108, v7
	v_fmac_f32_e32 v4, v107, v6
	v_cvt_f64_f32_e32 v[4:5], v4
	v_mul_f32_e32 v6, v108, v6
	v_fma_f32 v6, v107, v7, -v6
	v_mov_b32_e32 v12, s15
	v_cvt_f64_f32_e32 v[6:7], v6
	v_add_co_u32_e32 v13, vcc, s14, v0
	v_addc_co_u32_e32 v14, vcc, v12, v1, vcc
	v_mul_f64 v[0:1], v[4:5], s[2:3]
	v_lshlrev_b64 v[4:5], 3, v[10:11]
	v_mul_f64 v[10:11], v[6:7], s[2:3]
	v_add_co_u32_e32 v12, vcc, v13, v4
	v_addc_co_u32_e32 v13, vcc, v14, v5, vcc
	ds_read2_b64 v[4:7], v129 offset0:84 offset1:126
	global_store_dwordx2 v[12:13], v[8:9], off
	s_mul_i32 s4, s9, 42
	s_mul_hi_u32 s5, s8, 42
	v_cvt_f32_f64_e32 v0, v[0:1]
	s_waitcnt lgkmcnt(0)
	v_mul_f32_e32 v8, v104, v5
	v_fmac_f32_e32 v8, v103, v4
	v_mul_f32_e32 v4, v104, v4
	v_fma_f32 v4, v103, v5, -v4
	v_cvt_f64_f32_e32 v[4:5], v4
	v_cvt_f64_f32_e32 v[8:9], v8
	v_cvt_f32_f64_e32 v1, v[10:11]
	s_add_i32 s5, s5, s4
	v_mul_f64 v[4:5], v[4:5], s[2:3]
	v_mul_f64 v[8:9], v[8:9], s[2:3]
	s_mul_i32 s4, s8, 42
	s_lshl_b64 s[4:5], s[4:5], 3
	v_mov_b32_e32 v16, s5
	v_add_co_u32_e32 v10, vcc, s4, v12
	v_addc_co_u32_e32 v11, vcc, v13, v16, vcc
	global_store_dwordx2 v[10:11], v[0:1], off
	v_cvt_f32_f64_e32 v1, v[4:5]
	v_mul_f32_e32 v4, v100, v7
	v_fmac_f32_e32 v4, v99, v6
	v_cvt_f32_f64_e32 v0, v[8:9]
	v_cvt_f64_f32_e32 v[8:9], v4
	v_mul_f32_e32 v4, v100, v6
	v_fma_f32 v4, v99, v7, -v4
	v_cvt_f64_f32_e32 v[12:13], v4
	ds_read2_b64 v[4:7], v129 offset0:168 offset1:210
	v_mul_f64 v[8:9], v[8:9], s[2:3]
	v_add_co_u32_e32 v10, vcc, s4, v10
	v_mul_f64 v[12:13], v[12:13], s[2:3]
	s_waitcnt lgkmcnt(0)
	v_mul_f32_e32 v14, v102, v5
	v_fmac_f32_e32 v14, v101, v4
	v_mul_f32_e32 v4, v102, v4
	v_fma_f32 v4, v101, v5, -v4
	v_cvt_f64_f32_e32 v[4:5], v4
	v_cvt_f64_f32_e32 v[14:15], v14
	v_addc_co_u32_e32 v11, vcc, v11, v16, vcc
	v_mul_f64 v[4:5], v[4:5], s[2:3]
	global_store_dwordx2 v[10:11], v[0:1], off
	v_cvt_f32_f64_e32 v0, v[8:9]
	v_mul_f64 v[8:9], v[14:15], s[2:3]
	v_cvt_f32_f64_e32 v1, v[12:13]
	v_add_co_u32_e32 v10, vcc, s4, v10
	v_addc_co_u32_e32 v11, vcc, v11, v16, vcc
	global_store_dwordx2 v[10:11], v[0:1], off
	v_cvt_f32_f64_e32 v1, v[4:5]
	v_mul_f32_e32 v4, v96, v7
	v_fmac_f32_e32 v4, v95, v6
	v_cvt_f32_f64_e32 v0, v[8:9]
	v_cvt_f64_f32_e32 v[8:9], v4
	v_mul_f32_e32 v4, v96, v6
	v_fma_f32 v4, v95, v7, -v4
	v_cvt_f64_f32_e32 v[12:13], v4
	ds_read2_b64 v[4:7], v3 offset0:124 offset1:166
	v_mul_f64 v[8:9], v[8:9], s[2:3]
	v_add_co_u32_e32 v10, vcc, s4, v10
	v_mul_f64 v[12:13], v[12:13], s[2:3]
	s_waitcnt lgkmcnt(0)
	v_mul_f32_e32 v14, v98, v5
	v_fmac_f32_e32 v14, v97, v4
	v_mul_f32_e32 v4, v98, v4
	v_fma_f32 v4, v97, v5, -v4
	v_cvt_f64_f32_e32 v[4:5], v4
	v_cvt_f64_f32_e32 v[14:15], v14
	v_addc_co_u32_e32 v11, vcc, v11, v16, vcc
	v_mul_f64 v[4:5], v[4:5], s[2:3]
	global_store_dwordx2 v[10:11], v[0:1], off
	v_cvt_f32_f64_e32 v0, v[8:9]
	v_mul_f64 v[8:9], v[14:15], s[2:3]
	v_cvt_f32_f64_e32 v1, v[12:13]
	;; [unrolled: 28-line block ×4, first 2 shown]
	v_add_co_u32_e32 v10, vcc, s4, v10
	v_addc_co_u32_e32 v11, vcc, v11, v16, vcc
	global_store_dwordx2 v[10:11], v[0:1], off
	v_cvt_f32_f64_e32 v1, v[4:5]
	v_mul_f32_e32 v4, v85, v7
	v_fmac_f32_e32 v4, v84, v6
	v_cvt_f32_f64_e32 v0, v[8:9]
	v_cvt_f64_f32_e32 v[4:5], v4
	ds_read_b64 v[8:9], v129 offset:4032
	v_mul_f32_e32 v6, v85, v6
	v_fma_f32 v6, v84, v7, -v6
	v_mul_f64 v[4:5], v[4:5], s[2:3]
	v_cvt_f64_f32_e32 v[6:7], v6
	s_waitcnt lgkmcnt(0)
	v_mul_f32_e32 v12, v83, v9
	v_fmac_f32_e32 v12, v82, v8
	v_mul_f32_e32 v8, v83, v8
	v_fma_f32 v8, v82, v9, -v8
	v_cvt_f64_f32_e32 v[12:13], v12
	v_cvt_f64_f32_e32 v[8:9], v8
	v_add_co_u32_e32 v10, vcc, s4, v10
	v_mul_f64 v[6:7], v[6:7], s[2:3]
	v_addc_co_u32_e32 v11, vcc, v11, v16, vcc
	global_store_dwordx2 v[10:11], v[0:1], off
	v_cvt_f32_f64_e32 v0, v[4:5]
	v_mul_f64 v[4:5], v[12:13], s[2:3]
	v_mul_f64 v[8:9], v[8:9], s[2:3]
	v_cvt_f32_f64_e32 v1, v[6:7]
	v_add_co_u32_e32 v6, vcc, s4, v10
	v_addc_co_u32_e32 v7, vcc, v11, v16, vcc
	v_cvt_f32_f64_e32 v4, v[4:5]
	v_cvt_f32_f64_e32 v5, v[8:9]
	global_store_dwordx2 v[6:7], v[0:1], off
	v_add_co_u32_e32 v0, vcc, s4, v6
	v_addc_co_u32_e32 v1, vcc, v7, v16, vcc
	global_store_dwordx2 v[0:1], v[4:5], off
	s_and_b64 exec, exec, s[0:1]
	s_cbranch_execz .LBB0_23
; %bb.22:
	global_load_dwordx2 v[4:5], v[80:81], off offset:312
	ds_read_b64 v[6:7], v132 offset:312
	s_waitcnt vmcnt(0) lgkmcnt(0)
	v_mul_f32_e32 v8, v7, v5
	v_mul_f32_e32 v5, v6, v5
	v_fmac_f32_e32 v8, v6, v4
	v_fma_f32 v6, v4, v7, -v5
	v_cvt_f64_f32_e32 v[4:5], v8
	v_cvt_f64_f32_e32 v[6:7], v6
	v_mov_b32_e32 v8, 0xfffff178
	v_mad_u64_u32 v[0:1], s[0:1], s8, v8, v[0:1]
	v_mul_f64 v[4:5], v[4:5], s[2:3]
	v_mul_f64 v[6:7], v[6:7], s[2:3]
	s_mul_i32 s0, s9, 0xfffff178
	s_sub_i32 s0, s0, s8
	v_add_u32_e32 v1, s0, v1
	s_movk_i32 s0, 0x1000
	v_cvt_f32_f64_e32 v4, v[4:5]
	v_cvt_f32_f64_e32 v5, v[6:7]
	global_store_dwordx2 v[0:1], v[4:5], off
	global_load_dwordx2 v[8:9], v[80:81], off offset:648
	ds_read2_b64 v[4:7], v129 offset0:81 offset1:123
	v_add_co_u32_e32 v0, vcc, s4, v0
	s_waitcnt vmcnt(0) lgkmcnt(0)
	v_mul_f32_e32 v10, v5, v9
	v_mul_f32_e32 v9, v4, v9
	v_fmac_f32_e32 v10, v4, v8
	v_fma_f32 v8, v8, v5, -v9
	v_cvt_f64_f32_e32 v[4:5], v10
	v_cvt_f64_f32_e32 v[8:9], v8
	v_mov_b32_e32 v10, s5
	v_addc_co_u32_e32 v1, vcc, v1, v10, vcc
	v_mul_f64 v[4:5], v[4:5], s[2:3]
	v_mul_f64 v[8:9], v[8:9], s[2:3]
	v_cvt_f32_f64_e32 v4, v[4:5]
	v_cvt_f32_f64_e32 v5, v[8:9]
	global_store_dwordx2 v[0:1], v[4:5], off
	global_load_dwordx2 v[4:5], v[80:81], off offset:984
	v_add_co_u32_e32 v0, vcc, s4, v0
	v_addc_co_u32_e32 v1, vcc, v1, v10, vcc
	s_waitcnt vmcnt(0)
	v_mul_f32_e32 v8, v7, v5
	v_mul_f32_e32 v5, v6, v5
	v_fmac_f32_e32 v8, v6, v4
	v_fma_f32 v6, v4, v7, -v5
	v_cvt_f64_f32_e32 v[4:5], v8
	v_cvt_f64_f32_e32 v[6:7], v6
	v_mul_f64 v[4:5], v[4:5], s[2:3]
	v_mul_f64 v[6:7], v[6:7], s[2:3]
	v_cvt_f32_f64_e32 v4, v[4:5]
	v_cvt_f32_f64_e32 v5, v[6:7]
	global_store_dwordx2 v[0:1], v[4:5], off
	global_load_dwordx2 v[8:9], v[80:81], off offset:1320
	ds_read2_b64 v[4:7], v129 offset0:165 offset1:207
	v_add_co_u32_e32 v0, vcc, s4, v0
	v_addc_co_u32_e32 v1, vcc, v1, v10, vcc
	s_waitcnt vmcnt(0) lgkmcnt(0)
	v_mul_f32_e32 v11, v5, v9
	v_mul_f32_e32 v9, v4, v9
	v_fmac_f32_e32 v11, v4, v8
	v_fma_f32 v8, v8, v5, -v9
	v_cvt_f64_f32_e32 v[4:5], v11
	v_cvt_f64_f32_e32 v[8:9], v8
	v_mul_f64 v[4:5], v[4:5], s[2:3]
	v_mul_f64 v[8:9], v[8:9], s[2:3]
	v_cvt_f32_f64_e32 v4, v[4:5]
	v_cvt_f32_f64_e32 v5, v[8:9]
	global_store_dwordx2 v[0:1], v[4:5], off
	global_load_dwordx2 v[4:5], v[80:81], off offset:1656
	v_add_co_u32_e32 v0, vcc, s4, v0
	v_addc_co_u32_e32 v1, vcc, v1, v10, vcc
	s_waitcnt vmcnt(0)
	v_mul_f32_e32 v8, v7, v5
	v_mul_f32_e32 v5, v6, v5
	v_fmac_f32_e32 v8, v6, v4
	v_fma_f32 v6, v4, v7, -v5
	v_cvt_f64_f32_e32 v[4:5], v8
	v_cvt_f64_f32_e32 v[6:7], v6
	v_mul_f64 v[4:5], v[4:5], s[2:3]
	v_mul_f64 v[6:7], v[6:7], s[2:3]
	v_cvt_f32_f64_e32 v4, v[4:5]
	v_cvt_f32_f64_e32 v5, v[6:7]
	global_store_dwordx2 v[0:1], v[4:5], off
	global_load_dwordx2 v[7:8], v[80:81], off offset:1992
	ds_read2_b64 v[3:6], v3 offset0:121 offset1:163
	v_add_co_u32_e32 v0, vcc, s4, v0
	v_addc_co_u32_e32 v1, vcc, v1, v10, vcc
	s_waitcnt vmcnt(0) lgkmcnt(0)
	v_mul_f32_e32 v9, v4, v8
	v_mul_f32_e32 v8, v3, v8
	v_fmac_f32_e32 v9, v3, v7
	v_fma_f32 v7, v7, v4, -v8
	v_cvt_f64_f32_e32 v[3:4], v9
	v_cvt_f64_f32_e32 v[7:8], v7
	;; [unrolled: 31-line block ×3, first 2 shown]
	v_mul_f64 v[3:4], v[3:4], s[2:3]
	v_mul_f64 v[7:8], v[7:8], s[2:3]
	v_cvt_f32_f64_e32 v3, v[3:4]
	v_cvt_f32_f64_e32 v4, v[7:8]
	global_store_dwordx2 v[0:1], v[3:4], off
	global_load_dwordx2 v[3:4], v[80:81], off offset:3000
	s_waitcnt vmcnt(0)
	v_mul_f32_e32 v7, v6, v4
	v_mul_f32_e32 v4, v5, v4
	v_fmac_f32_e32 v7, v5, v3
	v_fma_f32 v5, v3, v6, -v4
	v_cvt_f64_f32_e32 v[3:4], v7
	v_cvt_f64_f32_e32 v[5:6], v5
	v_mul_f64 v[3:4], v[3:4], s[2:3]
	v_mul_f64 v[5:6], v[5:6], s[2:3]
	v_cvt_f32_f64_e32 v3, v[3:4]
	v_cvt_f32_f64_e32 v4, v[5:6]
	v_add_co_u32_e32 v5, vcc, s4, v0
	v_addc_co_u32_e32 v6, vcc, v1, v10, vcc
	global_store_dwordx2 v[5:6], v[3:4], off
	global_load_dwordx2 v[7:8], v[80:81], off offset:3336
	ds_read2_b64 v[0:3], v2 offset0:161 offset1:203
	s_waitcnt vmcnt(0) lgkmcnt(0)
	v_mul_f32_e32 v4, v1, v8
	v_mul_f32_e32 v8, v0, v8
	v_fmac_f32_e32 v4, v0, v7
	v_fma_f32 v7, v7, v1, -v8
	v_cvt_f64_f32_e32 v[0:1], v4
	v_cvt_f64_f32_e32 v[7:8], v7
	v_add_co_u32_e32 v4, vcc, s4, v5
	v_mul_f64 v[0:1], v[0:1], s[2:3]
	v_mul_f64 v[7:8], v[7:8], s[2:3]
	v_addc_co_u32_e32 v5, vcc, v6, v10, vcc
	v_cvt_f32_f64_e32 v0, v[0:1]
	v_cvt_f32_f64_e32 v1, v[7:8]
	global_store_dwordx2 v[4:5], v[0:1], off
	global_load_dwordx2 v[0:1], v[80:81], off offset:3672
	v_add_co_u32_e32 v4, vcc, s4, v4
	v_addc_co_u32_e32 v5, vcc, v5, v10, vcc
	s_waitcnt vmcnt(0)
	v_mul_f32_e32 v6, v3, v1
	v_mul_f32_e32 v1, v2, v1
	v_fmac_f32_e32 v6, v2, v0
	v_fma_f32 v2, v0, v3, -v1
	v_cvt_f64_f32_e32 v[0:1], v6
	v_cvt_f64_f32_e32 v[2:3], v2
	v_mul_f64 v[0:1], v[0:1], s[2:3]
	v_mul_f64 v[2:3], v[2:3], s[2:3]
	v_cvt_f32_f64_e32 v0, v[0:1]
	v_cvt_f32_f64_e32 v1, v[2:3]
	global_store_dwordx2 v[4:5], v[0:1], off
	global_load_dwordx2 v[6:7], v[80:81], off offset:4008
	v_add_u32_e32 v0, 0xc00, v129
	ds_read2_b64 v[0:3], v0 offset0:117 offset1:159
	s_waitcnt vmcnt(0) lgkmcnt(0)
	v_mul_f32_e32 v8, v1, v7
	v_mul_f32_e32 v7, v0, v7
	v_fmac_f32_e32 v8, v0, v6
	v_fma_f32 v6, v6, v1, -v7
	v_cvt_f64_f32_e32 v[0:1], v8
	v_cvt_f64_f32_e32 v[6:7], v6
	v_add_co_u32_e32 v8, vcc, s0, v80
	v_mul_f64 v[0:1], v[0:1], s[2:3]
	v_mul_f64 v[6:7], v[6:7], s[2:3]
	v_addc_co_u32_e32 v9, vcc, 0, v81, vcc
	v_add_co_u32_e32 v4, vcc, s4, v4
	v_addc_co_u32_e32 v5, vcc, v5, v10, vcc
	v_cvt_f32_f64_e32 v0, v[0:1]
	v_cvt_f32_f64_e32 v1, v[6:7]
	global_store_dwordx2 v[4:5], v[0:1], off
	global_load_dwordx2 v[0:1], v[8:9], off offset:248
	s_waitcnt vmcnt(0)
	v_mul_f32_e32 v6, v3, v1
	v_mul_f32_e32 v1, v2, v1
	v_fmac_f32_e32 v6, v2, v0
	v_fma_f32 v2, v0, v3, -v1
	v_cvt_f64_f32_e32 v[0:1], v6
	v_cvt_f64_f32_e32 v[2:3], v2
	v_mul_f64 v[0:1], v[0:1], s[2:3]
	v_mul_f64 v[2:3], v[2:3], s[2:3]
	v_cvt_f32_f64_e32 v0, v[0:1]
	v_cvt_f32_f64_e32 v1, v[2:3]
	v_add_co_u32_e32 v2, vcc, s4, v4
	v_addc_co_u32_e32 v3, vcc, v5, v10, vcc
	global_store_dwordx2 v[2:3], v[0:1], off
.LBB0_23:
	s_endpgm
	.section	.rodata,"a",@progbits
	.p2align	6, 0x0
	.amdhsa_kernel bluestein_single_back_len546_dim1_sp_op_CI_CI
		.amdhsa_group_segment_fixed_size 13104
		.amdhsa_private_segment_fixed_size 0
		.amdhsa_kernarg_size 104
		.amdhsa_user_sgpr_count 6
		.amdhsa_user_sgpr_private_segment_buffer 1
		.amdhsa_user_sgpr_dispatch_ptr 0
		.amdhsa_user_sgpr_queue_ptr 0
		.amdhsa_user_sgpr_kernarg_segment_ptr 1
		.amdhsa_user_sgpr_dispatch_id 0
		.amdhsa_user_sgpr_flat_scratch_init 0
		.amdhsa_user_sgpr_private_segment_size 0
		.amdhsa_uses_dynamic_stack 0
		.amdhsa_system_sgpr_private_segment_wavefront_offset 0
		.amdhsa_system_sgpr_workgroup_id_x 1
		.amdhsa_system_sgpr_workgroup_id_y 0
		.amdhsa_system_sgpr_workgroup_id_z 0
		.amdhsa_system_sgpr_workgroup_info 0
		.amdhsa_system_vgpr_workitem_id 0
		.amdhsa_next_free_vgpr 206
		.amdhsa_next_free_sgpr 22
		.amdhsa_reserve_vcc 1
		.amdhsa_reserve_flat_scratch 0
		.amdhsa_float_round_mode_32 0
		.amdhsa_float_round_mode_16_64 0
		.amdhsa_float_denorm_mode_32 3
		.amdhsa_float_denorm_mode_16_64 3
		.amdhsa_dx10_clamp 1
		.amdhsa_ieee_mode 1
		.amdhsa_fp16_overflow 0
		.amdhsa_exception_fp_ieee_invalid_op 0
		.amdhsa_exception_fp_denorm_src 0
		.amdhsa_exception_fp_ieee_div_zero 0
		.amdhsa_exception_fp_ieee_overflow 0
		.amdhsa_exception_fp_ieee_underflow 0
		.amdhsa_exception_fp_ieee_inexact 0
		.amdhsa_exception_int_div_zero 0
	.end_amdhsa_kernel
	.text
.Lfunc_end0:
	.size	bluestein_single_back_len546_dim1_sp_op_CI_CI, .Lfunc_end0-bluestein_single_back_len546_dim1_sp_op_CI_CI
                                        ; -- End function
	.section	.AMDGPU.csdata,"",@progbits
; Kernel info:
; codeLenInByte = 22444
; NumSgprs: 26
; NumVgprs: 206
; ScratchSize: 0
; MemoryBound: 0
; FloatMode: 240
; IeeeMode: 1
; LDSByteSize: 13104 bytes/workgroup (compile time only)
; SGPRBlocks: 3
; VGPRBlocks: 51
; NumSGPRsForWavesPerEU: 26
; NumVGPRsForWavesPerEU: 206
; Occupancy: 1
; WaveLimiterHint : 1
; COMPUTE_PGM_RSRC2:SCRATCH_EN: 0
; COMPUTE_PGM_RSRC2:USER_SGPR: 6
; COMPUTE_PGM_RSRC2:TRAP_HANDLER: 0
; COMPUTE_PGM_RSRC2:TGID_X_EN: 1
; COMPUTE_PGM_RSRC2:TGID_Y_EN: 0
; COMPUTE_PGM_RSRC2:TGID_Z_EN: 0
; COMPUTE_PGM_RSRC2:TIDIG_COMP_CNT: 0
	.type	__hip_cuid_d67e274580d3ebed,@object ; @__hip_cuid_d67e274580d3ebed
	.section	.bss,"aw",@nobits
	.globl	__hip_cuid_d67e274580d3ebed
__hip_cuid_d67e274580d3ebed:
	.byte	0                               ; 0x0
	.size	__hip_cuid_d67e274580d3ebed, 1

	.ident	"AMD clang version 19.0.0git (https://github.com/RadeonOpenCompute/llvm-project roc-6.4.0 25133 c7fe45cf4b819c5991fe208aaa96edf142730f1d)"
	.section	".note.GNU-stack","",@progbits
	.addrsig
	.addrsig_sym __hip_cuid_d67e274580d3ebed
	.amdgpu_metadata
---
amdhsa.kernels:
  - .args:
      - .actual_access:  read_only
        .address_space:  global
        .offset:         0
        .size:           8
        .value_kind:     global_buffer
      - .actual_access:  read_only
        .address_space:  global
        .offset:         8
        .size:           8
        .value_kind:     global_buffer
      - .actual_access:  read_only
        .address_space:  global
        .offset:         16
        .size:           8
        .value_kind:     global_buffer
      - .actual_access:  read_only
        .address_space:  global
        .offset:         24
        .size:           8
        .value_kind:     global_buffer
      - .actual_access:  read_only
        .address_space:  global
        .offset:         32
        .size:           8
        .value_kind:     global_buffer
      - .offset:         40
        .size:           8
        .value_kind:     by_value
      - .address_space:  global
        .offset:         48
        .size:           8
        .value_kind:     global_buffer
      - .address_space:  global
        .offset:         56
        .size:           8
        .value_kind:     global_buffer
      - .address_space:  global
        .offset:         64
        .size:           8
        .value_kind:     global_buffer
      - .address_space:  global
        .offset:         72
        .size:           8
        .value_kind:     global_buffer
      - .offset:         80
        .size:           4
        .value_kind:     by_value
      - .address_space:  global
        .offset:         88
        .size:           8
        .value_kind:     global_buffer
      - .address_space:  global
        .offset:         96
        .size:           8
        .value_kind:     global_buffer
    .group_segment_fixed_size: 13104
    .kernarg_segment_align: 8
    .kernarg_segment_size: 104
    .language:       OpenCL C
    .language_version:
      - 2
      - 0
    .max_flat_workgroup_size: 117
    .name:           bluestein_single_back_len546_dim1_sp_op_CI_CI
    .private_segment_fixed_size: 0
    .sgpr_count:     26
    .sgpr_spill_count: 0
    .symbol:         bluestein_single_back_len546_dim1_sp_op_CI_CI.kd
    .uniform_work_group_size: 1
    .uses_dynamic_stack: false
    .vgpr_count:     206
    .vgpr_spill_count: 0
    .wavefront_size: 64
amdhsa.target:   amdgcn-amd-amdhsa--gfx906
amdhsa.version:
  - 1
  - 2
...

	.end_amdgpu_metadata
